;; amdgpu-corpus repo=ROCm/rocFFT kind=compiled arch=gfx950 opt=O3
	.text
	.amdgcn_target "amdgcn-amd-amdhsa--gfx950"
	.amdhsa_code_object_version 6
	.protected	fft_rtc_fwd_len1092_factors_2_2_13_7_3_wgs_52_tpt_52_halfLds_dp_op_CI_CI_unitstride_sbrr_R2C_dirReg ; -- Begin function fft_rtc_fwd_len1092_factors_2_2_13_7_3_wgs_52_tpt_52_halfLds_dp_op_CI_CI_unitstride_sbrr_R2C_dirReg
	.globl	fft_rtc_fwd_len1092_factors_2_2_13_7_3_wgs_52_tpt_52_halfLds_dp_op_CI_CI_unitstride_sbrr_R2C_dirReg
	.p2align	8
	.type	fft_rtc_fwd_len1092_factors_2_2_13_7_3_wgs_52_tpt_52_halfLds_dp_op_CI_CI_unitstride_sbrr_R2C_dirReg,@function
fft_rtc_fwd_len1092_factors_2_2_13_7_3_wgs_52_tpt_52_halfLds_dp_op_CI_CI_unitstride_sbrr_R2C_dirReg: ; @fft_rtc_fwd_len1092_factors_2_2_13_7_3_wgs_52_tpt_52_halfLds_dp_op_CI_CI_unitstride_sbrr_R2C_dirReg
; %bb.0:
	s_load_dwordx4 s[4:7], s[0:1], 0x58
	s_load_dwordx4 s[8:11], s[0:1], 0x0
	;; [unrolled: 1-line block ×3, first 2 shown]
	v_mul_u32_u24_e32 v1, 0x4ed, v0
	v_add_u32_sdwa v6, s2, v1 dst_sel:DWORD dst_unused:UNUSED_PAD src0_sel:DWORD src1_sel:WORD_1
	v_mov_b32_e32 v4, 0
	s_waitcnt lgkmcnt(0)
	v_cmp_lt_u64_e64 s[2:3], s[10:11], 2
	v_mov_b32_e32 v7, v4
	s_and_b64 vcc, exec, s[2:3]
	v_mov_b64_e32 v[2:3], 0
	s_cbranch_vccnz .LBB0_8
; %bb.1:
	s_load_dwordx2 s[2:3], s[0:1], 0x10
	s_add_u32 s16, s14, 8
	s_addc_u32 s17, s15, 0
	s_add_u32 s18, s12, 8
	s_addc_u32 s19, s13, 0
	s_waitcnt lgkmcnt(0)
	s_add_u32 s20, s2, 8
	v_mov_b64_e32 v[2:3], 0
	s_addc_u32 s21, s3, 0
	s_mov_b64 s[22:23], 1
	v_mov_b64_e32 v[152:153], v[2:3]
.LBB0_2:                                ; =>This Inner Loop Header: Depth=1
	s_load_dwordx2 s[24:25], s[20:21], 0x0
                                        ; implicit-def: $vgpr156_vgpr157
	s_waitcnt lgkmcnt(0)
	v_or_b32_e32 v5, s25, v7
	v_cmp_ne_u64_e32 vcc, 0, v[4:5]
	s_and_saveexec_b64 s[2:3], vcc
	s_xor_b64 s[26:27], exec, s[2:3]
	s_cbranch_execz .LBB0_4
; %bb.3:                                ;   in Loop: Header=BB0_2 Depth=1
	v_cvt_f32_u32_e32 v1, s24
	v_cvt_f32_u32_e32 v5, s25
	s_sub_u32 s2, 0, s24
	s_subb_u32 s3, 0, s25
	v_fmac_f32_e32 v1, 0x4f800000, v5
	v_rcp_f32_e32 v1, v1
	s_nop 0
	v_mul_f32_e32 v1, 0x5f7ffffc, v1
	v_mul_f32_e32 v5, 0x2f800000, v1
	v_trunc_f32_e32 v5, v5
	v_fmac_f32_e32 v1, 0xcf800000, v5
	v_cvt_u32_f32_e32 v5, v5
	v_cvt_u32_f32_e32 v1, v1
	v_mul_lo_u32 v8, s2, v5
	v_mul_hi_u32 v10, s2, v1
	v_mul_lo_u32 v9, s3, v1
	v_add_u32_e32 v10, v10, v8
	v_mul_lo_u32 v12, s2, v1
	v_add_u32_e32 v13, v10, v9
	v_mul_hi_u32 v8, v1, v12
	v_mul_hi_u32 v11, v1, v13
	v_mul_lo_u32 v10, v1, v13
	v_mov_b32_e32 v9, v4
	v_lshl_add_u64 v[8:9], v[8:9], 0, v[10:11]
	v_mul_hi_u32 v11, v5, v12
	v_mul_lo_u32 v12, v5, v12
	v_add_co_u32_e32 v8, vcc, v8, v12
	v_mul_hi_u32 v10, v5, v13
	s_nop 0
	v_addc_co_u32_e32 v8, vcc, v9, v11, vcc
	v_mov_b32_e32 v9, v4
	s_nop 0
	v_addc_co_u32_e32 v11, vcc, 0, v10, vcc
	v_mul_lo_u32 v10, v5, v13
	v_lshl_add_u64 v[8:9], v[8:9], 0, v[10:11]
	v_add_co_u32_e32 v1, vcc, v1, v8
	v_mul_lo_u32 v10, s2, v1
	s_nop 0
	v_addc_co_u32_e32 v5, vcc, v5, v9, vcc
	v_mul_lo_u32 v8, s2, v5
	v_mul_hi_u32 v9, s2, v1
	v_add_u32_e32 v8, v9, v8
	v_mul_lo_u32 v9, s3, v1
	v_add_u32_e32 v12, v8, v9
	v_mul_hi_u32 v14, v5, v10
	v_mul_lo_u32 v15, v5, v10
	v_mul_hi_u32 v9, v1, v12
	v_mul_lo_u32 v8, v1, v12
	v_mul_hi_u32 v10, v1, v10
	v_mov_b32_e32 v11, v4
	v_lshl_add_u64 v[8:9], v[10:11], 0, v[8:9]
	v_add_co_u32_e32 v8, vcc, v8, v15
	v_mul_hi_u32 v13, v5, v12
	s_nop 0
	v_addc_co_u32_e32 v8, vcc, v9, v14, vcc
	v_mul_lo_u32 v10, v5, v12
	s_nop 0
	v_addc_co_u32_e32 v11, vcc, 0, v13, vcc
	v_mov_b32_e32 v9, v4
	v_lshl_add_u64 v[8:9], v[8:9], 0, v[10:11]
	v_add_co_u32_e32 v1, vcc, v1, v8
	v_mul_hi_u32 v10, v6, v1
	s_nop 0
	v_addc_co_u32_e32 v5, vcc, v5, v9, vcc
	v_mad_u64_u32 v[8:9], s[2:3], v6, v5, 0
	v_mov_b32_e32 v11, v4
	v_lshl_add_u64 v[8:9], v[10:11], 0, v[8:9]
	v_mad_u64_u32 v[12:13], s[2:3], v7, v1, 0
	v_add_co_u32_e32 v1, vcc, v8, v12
	v_mad_u64_u32 v[10:11], s[2:3], v7, v5, 0
	s_nop 0
	v_addc_co_u32_e32 v8, vcc, v9, v13, vcc
	v_mov_b32_e32 v9, v4
	s_nop 0
	v_addc_co_u32_e32 v11, vcc, 0, v11, vcc
	v_lshl_add_u64 v[8:9], v[8:9], 0, v[10:11]
	v_mul_lo_u32 v1, s25, v8
	v_mul_lo_u32 v5, s24, v9
	v_mad_u64_u32 v[10:11], s[2:3], s24, v8, 0
	v_add3_u32 v1, v11, v5, v1
	v_sub_u32_e32 v5, v7, v1
	v_mov_b32_e32 v11, s25
	v_sub_co_u32_e32 v14, vcc, v6, v10
	v_lshl_add_u64 v[12:13], v[8:9], 0, 1
	s_nop 0
	v_subb_co_u32_e64 v5, s[2:3], v5, v11, vcc
	v_subrev_co_u32_e64 v10, s[2:3], s24, v14
	v_subb_co_u32_e32 v1, vcc, v7, v1, vcc
	s_nop 0
	v_subbrev_co_u32_e64 v5, s[2:3], 0, v5, s[2:3]
	v_cmp_le_u32_e64 s[2:3], s25, v5
	v_cmp_le_u32_e32 vcc, s25, v1
	s_nop 0
	v_cndmask_b32_e64 v11, 0, -1, s[2:3]
	v_cmp_le_u32_e64 s[2:3], s24, v10
	s_nop 1
	v_cndmask_b32_e64 v10, 0, -1, s[2:3]
	v_cmp_eq_u32_e64 s[2:3], s25, v5
	s_nop 1
	v_cndmask_b32_e64 v5, v11, v10, s[2:3]
	v_lshl_add_u64 v[10:11], v[8:9], 0, 2
	v_cmp_ne_u32_e64 s[2:3], 0, v5
	s_nop 1
	v_cndmask_b32_e64 v5, v13, v11, s[2:3]
	v_cndmask_b32_e64 v11, 0, -1, vcc
	v_cmp_le_u32_e32 vcc, s24, v14
	s_nop 1
	v_cndmask_b32_e64 v13, 0, -1, vcc
	v_cmp_eq_u32_e32 vcc, s25, v1
	s_nop 1
	v_cndmask_b32_e32 v1, v11, v13, vcc
	v_cmp_ne_u32_e32 vcc, 0, v1
	v_cndmask_b32_e64 v1, v12, v10, s[2:3]
	s_nop 0
	v_cndmask_b32_e32 v157, v9, v5, vcc
	v_cndmask_b32_e32 v156, v8, v1, vcc
.LBB0_4:                                ;   in Loop: Header=BB0_2 Depth=1
	s_andn2_saveexec_b64 s[2:3], s[26:27]
	s_cbranch_execz .LBB0_6
; %bb.5:                                ;   in Loop: Header=BB0_2 Depth=1
	v_cvt_f32_u32_e32 v1, s24
	s_sub_i32 s26, 0, s24
	v_mov_b32_e32 v157, v4
	v_rcp_iflag_f32_e32 v1, v1
	s_nop 0
	v_mul_f32_e32 v1, 0x4f7ffffe, v1
	v_cvt_u32_f32_e32 v1, v1
	v_mul_lo_u32 v5, s26, v1
	v_mul_hi_u32 v5, v1, v5
	v_add_u32_e32 v1, v1, v5
	v_mul_hi_u32 v1, v6, v1
	v_mul_lo_u32 v5, v1, s24
	v_sub_u32_e32 v5, v6, v5
	v_add_u32_e32 v8, 1, v1
	v_subrev_u32_e32 v9, s24, v5
	v_cmp_le_u32_e32 vcc, s24, v5
	s_nop 1
	v_cndmask_b32_e32 v5, v5, v9, vcc
	v_cndmask_b32_e32 v1, v1, v8, vcc
	v_add_u32_e32 v8, 1, v1
	v_cmp_le_u32_e32 vcc, s24, v5
	s_nop 1
	v_cndmask_b32_e32 v156, v1, v8, vcc
.LBB0_6:                                ;   in Loop: Header=BB0_2 Depth=1
	s_or_b64 exec, exec, s[2:3]
	v_mad_u64_u32 v[8:9], s[2:3], v156, s24, 0
	s_load_dwordx2 s[2:3], s[18:19], 0x0
	v_mul_lo_u32 v1, v157, s24
	v_mul_lo_u32 v5, v156, s25
	s_load_dwordx2 s[24:25], s[16:17], 0x0
	s_add_u32 s22, s22, 1
	v_add3_u32 v1, v9, v5, v1
	v_sub_co_u32_e32 v5, vcc, v6, v8
	s_addc_u32 s23, s23, 0
	s_nop 0
	v_subb_co_u32_e32 v1, vcc, v7, v1, vcc
	s_add_u32 s16, s16, 8
	s_waitcnt lgkmcnt(0)
	v_mul_lo_u32 v6, s2, v1
	v_mul_lo_u32 v7, s3, v5
	v_mad_u64_u32 v[2:3], s[2:3], s2, v5, v[2:3]
	s_addc_u32 s17, s17, 0
	v_add3_u32 v3, v7, v3, v6
	v_mul_lo_u32 v1, s24, v1
	v_mul_lo_u32 v6, s25, v5
	v_mad_u64_u32 v[152:153], s[2:3], s24, v5, v[152:153]
	s_add_u32 s18, s18, 8
	v_add3_u32 v153, v6, v153, v1
	s_addc_u32 s19, s19, 0
	v_mov_b64_e32 v[6:7], s[10:11]
	s_add_u32 s20, s20, 8
	v_cmp_ge_u64_e32 vcc, s[22:23], v[6:7]
	s_addc_u32 s21, s21, 0
	s_cbranch_vccnz .LBB0_9
; %bb.7:                                ;   in Loop: Header=BB0_2 Depth=1
	v_mov_b64_e32 v[6:7], v[156:157]
	s_branch .LBB0_2
.LBB0_8:
	v_mov_b64_e32 v[152:153], v[2:3]
	v_mov_b64_e32 v[156:157], v[6:7]
.LBB0_9:
	s_load_dwordx2 s[18:19], s[0:1], 0x28
	s_lshl_b64 s[16:17], s[10:11], 3
	s_add_u32 s2, s14, s16
	s_addc_u32 s3, s15, s17
                                        ; implicit-def: $vgpr154
                                        ; implicit-def: $vgpr158
                                        ; implicit-def: $vgpr176
                                        ; implicit-def: $vgpr174
                                        ; implicit-def: $vgpr172
                                        ; implicit-def: $vgpr170
                                        ; implicit-def: $vgpr168
                                        ; implicit-def: $vgpr166
                                        ; implicit-def: $vgpr164
                                        ; implicit-def: $vgpr162
                                        ; implicit-def: $vgpr160
	s_waitcnt lgkmcnt(0)
	v_cmp_gt_u64_e64 s[0:1], s[18:19], v[156:157]
	v_cmp_le_u64_e32 vcc, s[18:19], v[156:157]
	s_and_saveexec_b64 s[10:11], vcc
	s_xor_b64 s[10:11], exec, s[10:11]
	s_cbranch_execz .LBB0_11
; %bb.10:
	s_mov_b32 s14, 0x4ec4ec5
	v_mul_hi_u32 v1, v0, s14
	v_mul_u32_u24_e32 v1, 52, v1
	v_sub_u32_e32 v154, v0, v1
	v_add_u32_e32 v158, 52, v154
	v_add_u32_e32 v176, 0x68, v154
	;; [unrolled: 1-line block ×10, first 2 shown]
                                        ; implicit-def: $vgpr0
                                        ; implicit-def: $vgpr2_vgpr3
.LBB0_11:
	s_andn2_saveexec_b64 s[10:11], s[10:11]
	s_cbranch_execz .LBB0_13
; %bb.12:
	s_add_u32 s12, s12, s16
	s_addc_u32 s13, s13, s17
	s_load_dwordx2 s[12:13], s[12:13], 0x0
	s_mov_b32 s14, 0x4ec4ec5
	v_mov_b32_e32 v35, 0
	s_waitcnt lgkmcnt(0)
	v_mul_lo_u32 v1, s13, v156
	v_mul_lo_u32 v6, s12, v157
	v_mad_u64_u32 v[4:5], s[12:13], s12, v156, 0
	v_add3_u32 v5, v5, v6, v1
	v_mul_hi_u32 v1, v0, s14
	v_mul_u32_u24_e32 v1, 52, v1
	v_sub_u32_e32 v154, v0, v1
	v_lshl_add_u64 v[0:1], v[4:5], 4, s[4:5]
	v_lshl_add_u64 v[32:33], v[2:3], 4, v[0:1]
	v_lshlrev_b32_e32 v34, 4, v154
	v_lshl_add_u64 v[76:77], v[32:33], 0, v[34:35]
	s_movk_i32 s4, 0x1000
	v_add_co_u32_e32 v78, vcc, s4, v76
	s_movk_i32 s4, 0x2000
	s_nop 0
	v_addc_co_u32_e32 v79, vcc, 0, v77, vcc
	v_add_co_u32_e32 v80, vcc, s4, v76
	s_movk_i32 s5, 0x3000
	s_nop 0
	v_addc_co_u32_e32 v81, vcc, 0, v77, vcc
	v_add_co_u32_e32 v84, vcc, s5, v76
	v_add_u32_e32 v88, 0, v34
	v_or_b32_e32 v34, 0x3400, v34
	v_addc_co_u32_e32 v85, vcc, 0, v77, vcc
	v_lshl_add_u64 v[82:83], v[32:33], 0, v[34:35]
	v_add_co_u32_e32 v86, vcc, 0x4000, v76
	global_load_dwordx4 v[0:3], v[76:77], off
	global_load_dwordx4 v[4:7], v[76:77], off offset:832
	global_load_dwordx4 v[8:11], v[76:77], off offset:1664
	;; [unrolled: 1-line block ×15, first 2 shown]
	global_load_dwordx4 v[64:67], v[82:83], off
	global_load_dwordx4 v[68:71], v[84:85], off offset:1856
	global_load_dwordx4 v[72:75], v[84:85], off offset:2688
	v_addc_co_u32_e32 v87, vcc, 0, v77, vcc
	global_load_dwordx4 v[76:79], v[84:85], off offset:3520
	global_load_dwordx4 v[80:83], v[86:87], off offset:256
	v_add_u32_e32 v158, 52, v154
	v_add_u32_e32 v176, 0x68, v154
	;; [unrolled: 1-line block ×10, first 2 shown]
	s_waitcnt vmcnt(20)
	ds_write_b128 v88, v[0:3]
	s_waitcnt vmcnt(19)
	ds_write_b128 v88, v[4:7] offset:832
	s_waitcnt vmcnt(18)
	ds_write_b128 v88, v[8:11] offset:1664
	s_waitcnt vmcnt(17)
	ds_write_b128 v88, v[12:15] offset:2496
	s_waitcnt vmcnt(16)
	ds_write_b128 v88, v[16:19] offset:3328
	s_waitcnt vmcnt(15)
	ds_write_b128 v88, v[20:23] offset:4160
	s_waitcnt vmcnt(14)
	ds_write_b128 v88, v[24:27] offset:4992
	s_waitcnt vmcnt(13)
	ds_write_b128 v88, v[28:31] offset:5824
	s_waitcnt vmcnt(12)
	ds_write_b128 v88, v[32:35] offset:6656
	s_waitcnt vmcnt(11)
	ds_write_b128 v88, v[36:39] offset:7488
	s_waitcnt vmcnt(10)
	ds_write_b128 v88, v[40:43] offset:8320
	s_waitcnt vmcnt(9)
	ds_write_b128 v88, v[44:47] offset:9152
	s_waitcnt vmcnt(8)
	ds_write_b128 v88, v[48:51] offset:9984
	s_waitcnt vmcnt(7)
	ds_write_b128 v88, v[52:55] offset:10816
	s_waitcnt vmcnt(6)
	ds_write_b128 v88, v[56:59] offset:11648
	s_waitcnt vmcnt(5)
	ds_write_b128 v88, v[60:63] offset:12480
	s_waitcnt vmcnt(4)
	ds_write_b128 v88, v[64:67] offset:13312
	s_waitcnt vmcnt(3)
	ds_write_b128 v88, v[68:71] offset:14144
	s_waitcnt vmcnt(2)
	ds_write_b128 v88, v[72:75] offset:14976
	s_waitcnt vmcnt(1)
	ds_write_b128 v88, v[76:79] offset:15808
	s_waitcnt vmcnt(0)
	ds_write_b128 v88, v[80:83] offset:16640
.LBB0_13:
	s_or_b64 exec, exec, s[10:11]
	v_lshlrev_b32_e32 v155, 4, v154
	v_add_u32_e32 v163, 0, v155
	s_load_dwordx2 s[4:5], s[2:3], 0x0
	s_waitcnt lgkmcnt(0)
	; wave barrier
	s_waitcnt lgkmcnt(0)
	ds_read_b128 v[20:23], v163 offset:8736
	ds_read_b128 v[24:27], v163
	ds_read_b128 v[0:3], v163 offset:832
	ds_read_b128 v[8:11], v163 offset:9568
	;; [unrolled: 1-line block ×6, first 2 shown]
	s_waitcnt lgkmcnt(6)
	v_add_f64 v[20:21], v[24:25], -v[20:21]
	v_add_f64 v[22:23], v[26:27], -v[22:23]
	v_fma_f64 v[24:25], v[24:25], 2.0, -v[20:21]
	v_fma_f64 v[26:27], v[26:27], 2.0, -v[22:23]
	v_add_u32_e32 v88, v163, v155
	s_waitcnt lgkmcnt(4)
	v_add_f64 v[8:9], v[0:1], -v[8:9]
	v_add_f64 v[10:11], v[2:3], -v[10:11]
	ds_read_b128 v[32:35], v163 offset:11232
	ds_read_b128 v[36:39], v163 offset:12064
	;; [unrolled: 1-line block ×14, first 2 shown]
	s_waitcnt lgkmcnt(0)
	; wave barrier
	s_waitcnt lgkmcnt(0)
	ds_write_b128 v88, v[24:27]
	ds_write_b128 v88, v[20:23] offset:16
	v_fma_f64 v[0:1], v[0:1], 2.0, -v[8:9]
	v_fma_f64 v[2:3], v[2:3], 2.0, -v[10:11]
	v_lshl_add_u32 v20, v158, 5, 0
	ds_write_b128 v20, v[0:3]
	ds_write_b128 v20, v[8:11] offset:16
	v_add_f64 v[0:1], v[12:13], -v[16:17]
	v_add_f64 v[2:3], v[14:15], -v[18:19]
	v_fma_f64 v[8:9], v[12:13], 2.0, -v[0:1]
	v_fma_f64 v[10:11], v[14:15], 2.0, -v[2:3]
	v_lshl_add_u32 v12, v176, 5, 0
	ds_write_b128 v12, v[8:11]
	ds_write_b128 v12, v[0:3] offset:16
	v_add_f64 v[0:1], v[4:5], -v[32:33]
	v_add_f64 v[2:3], v[6:7], -v[34:35]
	;; [unrolled: 7-line block ×4, first 2 shown]
	v_fma_f64 v[8:9], v[44:45], 2.0, -v[4:5]
	v_fma_f64 v[10:11], v[46:47], 2.0, -v[6:7]
	v_add_f64 v[12:13], v[56:57], -v[52:53]
	v_add_f64 v[14:15], v[58:59], -v[54:55]
	;; [unrolled: 1-line block ×10, first 2 shown]
	v_fma_f64 v[16:17], v[56:57], 2.0, -v[12:13]
	v_fma_f64 v[18:19], v[58:59], 2.0, -v[14:15]
	;; [unrolled: 1-line block ×10, first 2 shown]
	v_lshl_add_u32 v173, v170, 5, 0
	v_lshl_add_u32 v177, v168, 5, 0
	;; [unrolled: 1-line block ×5, first 2 shown]
	v_cmp_gt_u32_e32 vcc, 26, v154
	ds_write_b128 v173, v[8:11]
	ds_write_b128 v173, v[4:7] offset:16
	ds_write_b128 v177, v[16:19]
	ds_write_b128 v177, v[12:15] offset:16
	;; [unrolled: 2-line block ×5, first 2 shown]
	s_and_saveexec_b64 s[2:3], vcc
	s_cbranch_execz .LBB0_15
; %bb.14:
	v_lshl_add_u32 v4, v160, 5, 0
	ds_write_b128 v4, v[32:35]
	ds_write_b128 v4, v[0:3] offset:16
.LBB0_15:
	s_or_b64 exec, exec, s[2:3]
	v_lshlrev_b32_e32 v181, 4, v170
	v_lshl_add_u32 v169, v176, 4, 0
	v_lshl_add_u32 v165, v172, 4, 0
	v_sub_u32_e32 v4, v173, v181
	v_lshlrev_b32_e32 v183, 4, v168
	v_lshlrev_b32_e32 v187, 4, v166
	;; [unrolled: 1-line block ×4, first 2 shown]
	s_waitcnt lgkmcnt(0)
	; wave barrier
	s_waitcnt lgkmcnt(0)
	ds_read_b128 v[40:43], v163
	ds_read_b128 v[84:87], v163 offset:8736
	ds_read_b128 v[80:83], v163 offset:9568
	;; [unrolled: 1-line block ×3, first 2 shown]
	v_lshl_add_u32 v167, v174, 4, 0
	ds_read_b128 v[36:39], v169
	ds_read_b128 v[28:31], v167
	ds_read_b128 v[72:75], v163 offset:11232
	ds_read_b128 v[64:67], v163 offset:12064
	ds_read_b128 v[24:27], v165
	ds_read_b128 v[16:19], v4
	v_sub_u32_e32 v4, v177, v183
	v_sub_u32_e32 v5, v175, v187
	;; [unrolled: 1-line block ×4, first 2 shown]
	v_lshl_add_u32 v171, v158, 4, 0
	ds_read_b128 v[68:71], v163 offset:12896
	ds_read_b128 v[56:59], v163 offset:13728
	ds_read_b128 v[8:11], v4
	ds_read_b128 v[4:7], v5
	ds_read_b128 v[60:63], v163 offset:14560
	ds_read_b128 v[48:51], v163 offset:15392
	ds_read_b128 v[12:15], v12
	ds_read_b128 v[20:23], v20
	;; [unrolled: 1-line block ×3, first 2 shown]
	ds_read_b128 v[52:55], v163 offset:16224
	v_lshlrev_b32_e32 v190, 1, v158
	v_lshlrev_b32_e32 v188, 1, v176
	v_lshlrev_b32_e32 v186, 1, v174
	v_lshlrev_b32_e32 v184, 1, v172
	v_lshlrev_b32_e32 v182, 1, v170
	v_lshlrev_b32_e32 v180, 1, v168
	v_lshlrev_b32_e32 v90, 1, v166
	v_lshlrev_b32_e32 v89, 1, v164
	v_lshlrev_b32_e32 v88, 1, v162
	v_lshl_add_u32 v208, v160, 4, 0
	s_and_saveexec_b64 s[2:3], vcc
	s_cbranch_execz .LBB0_17
; %bb.16:
	ds_read_b128 v[32:35], v208
	ds_read_b128 v[0:3], v163 offset:17056
.LBB0_17:
	s_or_b64 exec, exec, s[2:3]
	v_and_b32_e32 v91, 1, v154
	v_lshlrev_b32_e32 v92, 4, v91
	global_load_dwordx4 v[92:95], v92, s[8:9]
	v_lshlrev_b32_e32 v178, 1, v154
	s_movk_i32 s2, 0x7c
	s_waitcnt lgkmcnt(0)
	; wave barrier
	s_waitcnt lgkmcnt(0)
	s_movk_i32 s3, 0x2fc
	s_waitcnt vmcnt(0)
	v_mul_f64 v[96:97], v[86:87], v[94:95]
	v_fma_f64 v[96:97], v[84:85], v[92:93], -v[96:97]
	v_mul_f64 v[84:85], v[84:85], v[94:95]
	v_fmac_f64_e32 v[84:85], v[86:87], v[92:93]
	v_mul_f64 v[86:87], v[82:83], v[94:95]
	v_fma_f64 v[86:87], v[80:81], v[92:93], -v[86:87]
	v_mul_f64 v[80:81], v[80:81], v[94:95]
	v_fmac_f64_e32 v[80:81], v[82:83], v[92:93]
	v_mul_f64 v[82:83], v[78:79], v[94:95]
	v_fma_f64 v[82:83], v[76:77], v[92:93], -v[82:83]
	v_mul_f64 v[76:77], v[76:77], v[94:95]
	v_fmac_f64_e32 v[76:77], v[78:79], v[92:93]
	v_mul_f64 v[78:79], v[74:75], v[94:95]
	v_fma_f64 v[78:79], v[72:73], v[92:93], -v[78:79]
	v_mul_f64 v[72:73], v[72:73], v[94:95]
	v_fmac_f64_e32 v[72:73], v[74:75], v[92:93]
	v_mul_f64 v[74:75], v[66:67], v[94:95]
	v_fma_f64 v[74:75], v[64:65], v[92:93], -v[74:75]
	v_mul_f64 v[98:99], v[64:65], v[94:95]
	v_mul_f64 v[64:65], v[70:71], v[94:95]
	v_fma_f64 v[100:101], v[68:69], v[92:93], -v[64:65]
	v_mul_f64 v[64:65], v[58:59], v[94:95]
	v_fma_f64 v[104:105], v[56:57], v[92:93], -v[64:65]
	v_mul_f64 v[106:107], v[56:57], v[94:95]
	v_mul_f64 v[56:57], v[62:63], v[94:95]
	v_fma_f64 v[108:109], v[60:61], v[92:93], -v[56:57]
	v_mul_f64 v[56:57], v[50:51], v[94:95]
	v_fma_f64 v[112:113], v[48:49], v[92:93], -v[56:57]
	v_mul_f64 v[114:115], v[48:49], v[94:95]
	v_mul_f64 v[48:49], v[54:55], v[94:95]
	;; [unrolled: 1-line block ×4, first 2 shown]
	v_fma_f64 v[116:117], v[52:53], v[92:93], -v[48:49]
	v_mul_f64 v[118:119], v[52:53], v[94:95]
	v_mul_f64 v[48:49], v[2:3], v[94:95]
	;; [unrolled: 1-line block ×3, first 2 shown]
	v_fmac_f64_e32 v[98:99], v[66:67], v[92:93]
	v_fmac_f64_e32 v[102:103], v[70:71], v[92:93]
	;; [unrolled: 1-line block ×6, first 2 shown]
	v_fma_f64 v[120:121], v[0:1], v[92:93], -v[48:49]
	v_fmac_f64_e32 v[94:95], v[2:3], v[92:93]
	v_add_f64 v[48:49], v[40:41], -v[96:97]
	v_add_f64 v[50:51], v[42:43], -v[84:85]
	v_and_or_b32 v92, v178, s2, v91
	v_fma_f64 v[40:41], v[40:41], 2.0, -v[48:49]
	v_fma_f64 v[42:43], v[42:43], 2.0, -v[50:51]
	v_lshl_add_u32 v92, v92, 4, 0
	s_movk_i32 s2, 0xfc
	v_add_f64 v[52:53], v[44:45], -v[86:87]
	v_add_f64 v[54:55], v[46:47], -v[80:81]
	ds_write_b128 v92, v[40:43]
	ds_write_b128 v92, v[48:51] offset:32
	v_and_or_b32 v40, v190, s2, v91
	v_fma_f64 v[44:45], v[44:45], 2.0, -v[52:53]
	v_fma_f64 v[46:47], v[46:47], 2.0, -v[54:55]
	v_lshl_add_u32 v40, v40, 4, 0
	s_movk_i32 s2, 0x1fc
	v_add_f64 v[56:57], v[36:37], -v[82:83]
	v_add_f64 v[58:59], v[38:39], -v[76:77]
	ds_write_b128 v40, v[44:47]
	ds_write_b128 v40, v[52:55] offset:32
	v_and_or_b32 v40, v188, s2, v91
	v_fma_f64 v[36:37], v[36:37], 2.0, -v[56:57]
	v_fma_f64 v[38:39], v[38:39], 2.0, -v[58:59]
	v_lshl_add_u32 v40, v40, 4, 0
	v_add_f64 v[60:61], v[28:29], -v[78:79]
	v_add_f64 v[62:63], v[30:31], -v[72:73]
	ds_write_b128 v40, v[36:39]
	ds_write_b128 v40, v[56:59] offset:32
	v_and_or_b32 v36, v186, s2, v91
	v_fma_f64 v[64:65], v[28:29], 2.0, -v[60:61]
	v_fma_f64 v[66:67], v[30:31], 2.0, -v[62:63]
	v_lshl_add_u32 v36, v36, 4, 0
	s_movk_i32 s2, 0x3fc
	v_add_f64 v[68:69], v[24:25], -v[74:75]
	v_add_f64 v[70:71], v[26:27], -v[98:99]
	ds_write_b128 v36, v[64:67]
	ds_write_b128 v36, v[60:63] offset:32
	v_and_or_b32 v36, v184, s2, v91
	v_fma_f64 v[72:73], v[24:25], 2.0, -v[68:69]
	v_fma_f64 v[74:75], v[26:27], 2.0, -v[70:71]
	v_lshl_add_u32 v36, v36, 4, 0
	v_add_f64 v[76:77], v[16:17], -v[100:101]
	v_add_f64 v[78:79], v[18:19], -v[102:103]
	ds_write_b128 v36, v[72:75]
	ds_write_b128 v36, v[68:71] offset:32
	v_and_or_b32 v36, v182, s3, v91
	v_fma_f64 v[80:81], v[16:17], 2.0, -v[76:77]
	v_fma_f64 v[82:83], v[18:19], 2.0, -v[78:79]
	v_lshl_add_u32 v36, v36, 4, 0
	;; [unrolled: 8-line block ×5, first 2 shown]
	s_movk_i32 s2, 0x7fc
	v_add_f64 v[24:25], v[20:21], -v[116:117]
	v_add_f64 v[26:27], v[22:23], -v[118:119]
	;; [unrolled: 1-line block ×4, first 2 shown]
	ds_write_b128 v36, v[12:15]
	ds_write_b128 v36, v[16:19] offset:32
	v_and_or_b32 v36, v88, s2, v91
	v_fma_f64 v[20:21], v[20:21], 2.0, -v[24:25]
	v_fma_f64 v[22:23], v[22:23], 2.0, -v[26:27]
	;; [unrolled: 1-line block ×4, first 2 shown]
	v_lshl_add_u32 v36, v36, 4, 0
	ds_write_b128 v36, v[20:23]
	ds_write_b128 v36, v[24:27] offset:32
	s_and_saveexec_b64 s[2:3], vcc
	s_cbranch_execz .LBB0_19
; %bb.18:
	v_lshlrev_b32_e32 v36, 1, v160
	s_movk_i32 s10, 0x47c
	v_and_or_b32 v36, v36, s10, v91
	v_lshl_add_u32 v36, v36, 4, 0
	ds_write_b128 v36, v[32:35]
	ds_write_b128 v36, v[28:31] offset:32
.LBB0_19:
	s_or_b64 exec, exec, s[2:3]
	s_waitcnt lgkmcnt(0)
	; wave barrier
	s_waitcnt lgkmcnt(0)
	ds_read_b128 v[100:103], v163
	ds_read_b128 v[148:151], v163 offset:1344
	ds_read_b128 v[144:147], v163 offset:2688
	;; [unrolled: 1-line block ×12, first 2 shown]
	v_cmp_gt_u32_e64 s[2:3], 32, v154
                                        ; implicit-def: $vgpr38_vgpr39
                                        ; implicit-def: $vgpr42_vgpr43
                                        ; implicit-def: $vgpr46_vgpr47
                                        ; implicit-def: $vgpr50_vgpr51
	s_and_saveexec_b64 s[10:11], s[2:3]
	s_cbranch_execz .LBB0_21
; %bb.20:
	ds_read_b128 v[0:3], v171
	ds_read_b128 v[4:7], v163 offset:2176
	ds_read_b128 v[8:11], v163 offset:3520
	;; [unrolled: 1-line block ×12, first 2 shown]
.LBB0_21:
	s_or_b64 exec, exec, s[10:11]
	v_and_b32_e32 v185, 3, v154
	v_mul_u32_u24_e32 v52, 12, v185
	v_lshlrev_b32_e32 v76, 4, v52
	global_load_dwordx4 v[52:55], v76, s[8:9] offset:32
	global_load_dwordx4 v[56:59], v76, s[8:9] offset:48
	;; [unrolled: 1-line block ×11, first 2 shown]
	s_nop 0
	global_load_dwordx4 v[76:79], v76, s[8:9] offset:208
	s_mov_b32 s10, 0x4267c47c
	s_mov_b32 s16, 0x42a4c3d2
	;; [unrolled: 1-line block ×36, first 2 shown]
	v_sub_u32_e32 v210, 0, v187
	v_lshrrev_b32_e32 v187, 2, v154
	v_mul_u32_u24_e32 v187, 52, v187
	v_or_b32_e32 v187, v187, v185
	v_sub_u32_e32 v209, 0, v181
	v_sub_u32_e32 v181, 0, v183
	v_sub_u32_e32 v183, 0, v189
	v_lshl_add_u32 v187, v187, 4, 0
	s_waitcnt lgkmcnt(0)
	; wave barrier
	s_waitcnt vmcnt(11) lgkmcnt(0)
	v_mul_f64 v[212:213], v[150:151], v[54:55]
	v_mul_f64 v[214:215], v[148:149], v[54:55]
	s_waitcnt vmcnt(10)
	v_mul_f64 v[216:217], v[146:147], v[58:59]
	v_mul_f64 v[218:219], v[144:145], v[58:59]
	v_fma_f64 v[148:149], v[148:149], v[52:53], -v[212:213]
	v_fmac_f64_e32 v[214:215], v[150:151], v[52:53]
	s_waitcnt vmcnt(9)
	v_mul_f64 v[220:221], v[142:143], v[62:63]
	v_mul_f64 v[204:205], v[140:141], v[62:63]
	v_fma_f64 v[144:145], v[144:145], v[56:57], -v[216:217]
	v_fmac_f64_e32 v[218:219], v[146:147], v[56:57]
	s_waitcnt vmcnt(1)
	v_mul_f64 v[238:239], v[108:109], v[90:91]
	s_waitcnt vmcnt(0)
	v_mul_f64 v[242:243], v[104:105], v[78:79]
	v_mul_f64 v[236:237], v[110:111], v[90:91]
	;; [unrolled: 1-line block ×3, first 2 shown]
	v_fmac_f64_e32 v[238:239], v[110:111], v[88:89]
	v_fmac_f64_e32 v[242:243], v[106:107], v[76:77]
	v_add_f64 v[106:107], v[100:101], v[148:149]
	v_add_f64 v[110:111], v[102:103], v[214:215]
	v_mul_f64 v[222:223], v[138:139], v[66:67]
	v_mul_f64 v[200:201], v[136:137], v[66:67]
	v_fma_f64 v[140:141], v[140:141], v[60:61], -v[220:221]
	v_fmac_f64_e32 v[204:205], v[142:143], v[60:61]
	v_add_f64 v[106:107], v[106:107], v[144:145]
	v_add_f64 v[110:111], v[110:111], v[218:219]
	v_mul_f64 v[224:225], v[134:135], v[70:71]
	v_mul_f64 v[196:197], v[132:133], v[70:71]
	v_fma_f64 v[136:137], v[136:137], v[64:65], -v[222:223]
	;; [unrolled: 6-line block ×7, first 2 shown]
	v_fmac_f64_e32 v[202:203], v[118:119], v[96:97]
	v_add_f64 v[106:107], v[106:107], v[120:121]
	v_add_f64 v[110:111], v[110:111], v[198:199]
	v_fma_f64 v[112:113], v[112:113], v[92:93], -v[234:235]
	v_fmac_f64_e32 v[206:207], v[114:115], v[92:93]
	v_add_f64 v[106:107], v[106:107], v[116:117]
	v_add_f64 v[110:111], v[110:111], v[202:203]
	v_fma_f64 v[108:109], v[108:109], v[88:89], -v[236:237]
	v_fma_f64 v[104:105], v[104:105], v[76:77], -v[240:241]
	v_add_f64 v[106:107], v[106:107], v[112:113]
	v_add_f64 v[110:111], v[110:111], v[206:207]
	v_add_f64 v[122:123], v[148:149], -v[104:105]
	v_add_f64 v[126:127], v[214:215], -v[242:243]
	v_add_f64 v[106:107], v[106:107], v[108:109]
	v_add_f64 v[110:111], v[110:111], v[238:239]
	;; [unrolled: 1-line block ×6, first 2 shown]
	v_mul_f64 v[110:111], v[126:127], s[10:11]
	v_mul_f64 v[134:135], v[122:123], s[10:11]
	v_mul_f64 v[142:143], v[126:127], s[16:17]
	v_mul_f64 v[148:149], v[122:123], s[16:17]
	v_mul_f64 v[212:213], v[126:127], s[20:21]
	v_mul_f64 v[216:217], v[122:123], s[20:21]
	v_mul_f64 v[222:223], v[126:127], s[24:25]
	v_mul_f64 v[226:227], v[122:123], s[24:25]
	v_mul_f64 v[230:231], v[126:127], s[28:29]
	v_mul_f64 v[234:235], v[122:123], s[28:29]
	v_mul_f64 v[126:127], v[126:127], s[34:35]
	v_mul_f64 v[122:123], v[122:123], s[34:35]
	v_fma_f64 v[130:131], v[114:115], s[12:13], -v[110:111]
	v_fma_f64 v[138:139], s[12:13], v[118:119], v[134:135]
	v_fmac_f64_e32 v[110:111], s[12:13], v[114:115]
	v_fma_f64 v[134:135], v[118:119], s[12:13], -v[134:135]
	v_fma_f64 v[146:147], v[114:115], s[14:15], -v[142:143]
	v_fma_f64 v[150:151], s[14:15], v[118:119], v[148:149]
	v_fmac_f64_e32 v[142:143], s[14:15], v[114:115]
	v_fma_f64 v[148:149], v[118:119], s[14:15], -v[148:149]
	;; [unrolled: 4-line block ×6, first 2 shown]
	v_add_f64 v[122:123], v[218:219], -v[238:239]
	v_add_f64 v[130:131], v[100:101], v[130:131]
	v_add_f64 v[138:139], v[102:103], v[138:139]
	;; [unrolled: 1-line block ×25, first 2 shown]
	v_mul_f64 v[126:127], v[122:123], s[16:17]
	v_add_f64 v[108:109], v[144:145], -v[108:109]
	v_fma_f64 v[144:145], v[114:115], s[14:15], -v[126:127]
	v_add_f64 v[118:119], v[218:219], v[238:239]
	v_add_f64 v[130:131], v[144:145], v[130:131]
	v_mul_f64 v[144:145], v[108:109], s[16:17]
	v_fmac_f64_e32 v[126:127], s[14:15], v[114:115]
	v_add_f64 v[110:111], v[126:127], v[110:111]
	v_fma_f64 v[126:127], v[118:119], s[14:15], -v[144:145]
	v_add_f64 v[126:127], v[126:127], v[134:135]
	v_mul_f64 v[134:135], v[122:123], s[24:25]
	v_fma_f64 v[218:219], s[14:15], v[118:119], v[144:145]
	v_fma_f64 v[144:145], v[114:115], s[22:23], -v[134:135]
	v_add_f64 v[144:145], v[144:145], v[146:147]
	v_mul_f64 v[146:147], v[108:109], s[24:25]
	v_fmac_f64_e32 v[134:135], s[22:23], v[114:115]
	v_add_f64 v[138:139], v[218:219], v[138:139]
	v_fma_f64 v[218:219], s[22:23], v[118:119], v[146:147]
	v_add_f64 v[134:135], v[134:135], v[142:143]
	v_fma_f64 v[142:143], v[118:119], s[22:23], -v[146:147]
	v_mul_f64 v[146:147], v[122:123], s[34:35]
	v_add_f64 v[142:143], v[142:143], v[148:149]
	v_fma_f64 v[148:149], v[114:115], s[30:31], -v[146:147]
	v_add_f64 v[148:149], v[148:149], v[214:215]
	v_mul_f64 v[214:215], v[108:109], s[34:35]
	v_fmac_f64_e32 v[146:147], s[30:31], v[114:115]
	v_add_f64 v[150:151], v[218:219], v[150:151]
	v_fma_f64 v[218:219], s[30:31], v[118:119], v[214:215]
	v_add_f64 v[146:147], v[146:147], v[212:213]
	v_fma_f64 v[212:213], v[118:119], s[30:31], -v[214:215]
	v_mul_f64 v[214:215], v[122:123], s[36:37]
	v_add_f64 v[218:219], v[218:219], v[220:221]
	v_add_f64 v[212:213], v[212:213], v[216:217]
	v_fma_f64 v[216:217], v[114:115], s[26:27], -v[214:215]
	v_mul_f64 v[220:221], v[108:109], s[36:37]
	v_fmac_f64_e32 v[214:215], s[26:27], v[114:115]
	v_add_f64 v[216:217], v[216:217], v[224:225]
	v_fma_f64 v[224:225], s[26:27], v[118:119], v[220:221]
	v_add_f64 v[214:215], v[214:215], v[222:223]
	v_fma_f64 v[220:221], v[118:119], s[26:27], -v[220:221]
	v_mul_f64 v[222:223], v[122:123], s[38:39]
	v_add_f64 v[224:225], v[224:225], v[228:229]
	v_add_f64 v[220:221], v[220:221], v[226:227]
	v_fma_f64 v[226:227], v[114:115], s[18:19], -v[222:223]
	v_mul_f64 v[228:229], v[108:109], s[38:39]
	v_add_f64 v[226:227], v[226:227], v[232:233]
	v_fma_f64 v[232:233], s[18:19], v[118:119], v[228:229]
	v_fmac_f64_e32 v[222:223], s[18:19], v[114:115]
	v_fma_f64 v[228:229], v[118:119], s[18:19], -v[228:229]
	v_mul_f64 v[122:123], v[122:123], s[40:41]
	v_mul_f64 v[108:109], v[108:109], s[40:41]
	v_add_f64 v[222:223], v[222:223], v[230:231]
	v_add_f64 v[228:229], v[228:229], v[234:235]
	v_fma_f64 v[230:231], v[114:115], s[12:13], -v[122:123]
	v_fma_f64 v[234:235], s[12:13], v[118:119], v[108:109]
	v_fmac_f64_e32 v[122:123], s[12:13], v[114:115]
	v_fma_f64 v[108:109], v[118:119], s[12:13], -v[108:109]
	v_add_f64 v[118:119], v[204:205], -v[206:207]
	v_add_f64 v[100:101], v[122:123], v[100:101]
	v_add_f64 v[102:103], v[108:109], v[102:103]
	;; [unrolled: 1-line block ×3, first 2 shown]
	v_mul_f64 v[122:123], v[118:119], s[20:21]
	v_add_f64 v[112:113], v[140:141], -v[112:113]
	v_fma_f64 v[140:141], v[108:109], s[18:19], -v[122:123]
	v_add_f64 v[114:115], v[204:205], v[206:207]
	v_add_f64 v[130:131], v[140:141], v[130:131]
	v_mul_f64 v[140:141], v[112:113], s[20:21]
	v_fmac_f64_e32 v[122:123], s[18:19], v[108:109]
	v_add_f64 v[110:111], v[122:123], v[110:111]
	v_fma_f64 v[122:123], v[114:115], s[18:19], -v[140:141]
	v_add_f64 v[122:123], v[122:123], v[126:127]
	v_mul_f64 v[126:127], v[118:119], s[34:35]
	v_fma_f64 v[204:205], s[18:19], v[114:115], v[140:141]
	v_fma_f64 v[140:141], v[108:109], s[30:31], -v[126:127]
	v_add_f64 v[140:141], v[140:141], v[144:145]
	v_mul_f64 v[144:145], v[112:113], s[34:35]
	v_fmac_f64_e32 v[126:127], s[30:31], v[108:109]
	v_add_f64 v[126:127], v[126:127], v[134:135]
	v_fma_f64 v[134:135], v[114:115], s[30:31], -v[144:145]
	v_add_f64 v[134:135], v[134:135], v[142:143]
	v_mul_f64 v[142:143], v[118:119], s[42:43]
	v_add_f64 v[138:139], v[204:205], v[138:139]
	v_fma_f64 v[204:205], s[30:31], v[114:115], v[144:145]
	v_fma_f64 v[144:145], v[108:109], s[22:23], -v[142:143]
	v_add_f64 v[144:145], v[144:145], v[148:149]
	v_mul_f64 v[148:149], v[112:113], s[42:43]
	v_fmac_f64_e32 v[142:143], s[22:23], v[108:109]
	v_add_f64 v[150:151], v[204:205], v[150:151]
	v_fma_f64 v[204:205], s[22:23], v[114:115], v[148:149]
	v_add_f64 v[142:143], v[142:143], v[146:147]
	v_fma_f64 v[146:147], v[114:115], s[22:23], -v[148:149]
	v_mul_f64 v[148:149], v[118:119], s[40:41]
	v_add_f64 v[146:147], v[146:147], v[212:213]
	v_fma_f64 v[206:207], v[108:109], s[12:13], -v[148:149]
	v_mul_f64 v[212:213], v[112:113], s[40:41]
	v_fmac_f64_e32 v[148:149], s[12:13], v[108:109]
	v_add_f64 v[206:207], v[206:207], v[216:217]
	v_fma_f64 v[216:217], s[12:13], v[114:115], v[212:213]
	v_add_f64 v[148:149], v[148:149], v[214:215]
	v_fma_f64 v[212:213], v[114:115], s[12:13], -v[212:213]
	v_mul_f64 v[214:215], v[118:119], s[16:17]
	v_add_f64 v[204:205], v[204:205], v[218:219]
	v_add_f64 v[212:213], v[212:213], v[220:221]
	v_fma_f64 v[218:219], v[108:109], s[14:15], -v[214:215]
	v_mul_f64 v[220:221], v[112:113], s[16:17]
	v_fmac_f64_e32 v[214:215], s[14:15], v[108:109]
	v_mul_f64 v[118:119], v[118:119], s[28:29]
	v_mul_f64 v[112:113], v[112:113], s[28:29]
	v_add_f64 v[214:215], v[214:215], v[222:223]
	v_fma_f64 v[222:223], v[108:109], s[26:27], -v[118:119]
	v_fmac_f64_e32 v[118:119], s[26:27], v[108:109]
	v_fma_f64 v[108:109], v[114:115], s[26:27], -v[112:113]
	v_add_f64 v[216:217], v[216:217], v[224:225]
	v_add_f64 v[218:219], v[218:219], v[226:227]
	v_fma_f64 v[224:225], s[14:15], v[114:115], v[220:221]
	v_fma_f64 v[220:221], v[114:115], s[14:15], -v[220:221]
	v_fma_f64 v[226:227], s[26:27], v[114:115], v[112:113]
	v_add_f64 v[102:103], v[108:109], v[102:103]
	v_add_f64 v[108:109], v[136:137], v[116:117]
	v_add_f64 v[114:115], v[136:137], -v[116:117]
	v_add_f64 v[116:117], v[200:201], -v[202:203]
	v_add_f64 v[100:101], v[118:119], v[100:101]
	v_mul_f64 v[118:119], v[116:117], s[24:25]
	v_fma_f64 v[136:137], v[108:109], s[22:23], -v[118:119]
	v_add_f64 v[112:113], v[200:201], v[202:203]
	v_add_f64 v[130:131], v[136:137], v[130:131]
	v_mul_f64 v[136:137], v[114:115], s[24:25]
	v_fmac_f64_e32 v[118:119], s[22:23], v[108:109]
	v_add_f64 v[110:111], v[118:119], v[110:111]
	v_fma_f64 v[118:119], v[112:113], s[22:23], -v[136:137]
	v_add_f64 v[118:119], v[118:119], v[122:123]
	v_mul_f64 v[122:123], v[116:117], s[36:37]
	v_fma_f64 v[200:201], s[22:23], v[112:113], v[136:137]
	v_fma_f64 v[136:137], v[108:109], s[26:27], -v[122:123]
	v_add_f64 v[136:137], v[136:137], v[140:141]
	v_mul_f64 v[140:141], v[114:115], s[36:37]
	v_fmac_f64_e32 v[122:123], s[26:27], v[108:109]
	v_add_f64 v[122:123], v[122:123], v[126:127]
	v_fma_f64 v[126:127], v[112:113], s[26:27], -v[140:141]
	v_add_f64 v[126:127], v[126:127], v[134:135]
	v_mul_f64 v[134:135], v[116:117], s[40:41]
	v_add_f64 v[138:139], v[200:201], v[138:139]
	v_fma_f64 v[200:201], s[26:27], v[112:113], v[140:141]
	v_fma_f64 v[140:141], v[108:109], s[12:13], -v[134:135]
	v_add_f64 v[140:141], v[140:141], v[144:145]
	v_mul_f64 v[144:145], v[114:115], s[40:41]
	v_fmac_f64_e32 v[134:135], s[12:13], v[108:109]
	v_add_f64 v[150:151], v[200:201], v[150:151]
	v_fma_f64 v[200:201], s[12:13], v[112:113], v[144:145]
	v_add_f64 v[134:135], v[134:135], v[142:143]
	v_fma_f64 v[142:143], v[112:113], s[12:13], -v[144:145]
	v_mul_f64 v[144:145], v[116:117], s[20:21]
	v_add_f64 v[142:143], v[142:143], v[146:147]
	v_fma_f64 v[146:147], v[108:109], s[18:19], -v[144:145]
	v_mul_f64 v[202:203], v[114:115], s[20:21]
	v_fmac_f64_e32 v[144:145], s[18:19], v[108:109]
	v_add_f64 v[200:201], v[200:201], v[204:205]
	v_fma_f64 v[204:205], s[18:19], v[112:113], v[202:203]
	v_add_f64 v[144:145], v[144:145], v[148:149]
	v_fma_f64 v[148:149], v[112:113], s[18:19], -v[202:203]
	v_mul_f64 v[202:203], v[116:117], s[44:45]
	v_add_f64 v[146:147], v[146:147], v[206:207]
	v_fma_f64 v[206:207], v[108:109], s[30:31], -v[202:203]
	v_fmac_f64_e32 v[202:203], s[30:31], v[108:109]
	v_mul_f64 v[116:117], v[116:117], s[46:47]
	v_add_f64 v[148:149], v[148:149], v[212:213]
	v_mul_f64 v[212:213], v[114:115], s[44:45]
	v_add_f64 v[202:203], v[202:203], v[214:215]
	v_fma_f64 v[214:215], v[108:109], s[14:15], -v[116:117]
	v_mul_f64 v[114:115], v[114:115], s[46:47]
	v_fmac_f64_e32 v[116:117], s[14:15], v[108:109]
	v_add_f64 v[100:101], v[116:117], v[100:101]
	v_fma_f64 v[108:109], v[112:113], s[14:15], -v[114:115]
	v_add_f64 v[116:117], v[196:197], -v[198:199]
	v_add_f64 v[206:207], v[206:207], v[218:219]
	v_fma_f64 v[218:219], s[14:15], v[112:113], v[114:115]
	v_add_f64 v[102:103], v[108:109], v[102:103]
	v_add_f64 v[108:109], v[132:133], v[120:121]
	v_add_f64 v[114:115], v[132:133], -v[120:121]
	v_mul_f64 v[120:121], v[116:117], s[28:29]
	v_fma_f64 v[132:133], v[108:109], s[26:27], -v[120:121]
	v_add_f64 v[204:205], v[204:205], v[216:217]
	v_fma_f64 v[216:217], s[30:31], v[112:113], v[212:213]
	v_fma_f64 v[212:213], v[112:113], s[30:31], -v[212:213]
	v_add_f64 v[112:113], v[196:197], v[198:199]
	v_add_f64 v[130:131], v[132:133], v[130:131]
	v_mul_f64 v[132:133], v[114:115], s[28:29]
	v_fmac_f64_e32 v[120:121], s[26:27], v[108:109]
	v_add_f64 v[110:111], v[120:121], v[110:111]
	v_fma_f64 v[120:121], v[112:113], s[26:27], -v[132:133]
	v_add_f64 v[118:119], v[120:121], v[118:119]
	v_mul_f64 v[120:121], v[116:117], s[38:39]
	v_fma_f64 v[196:197], s[26:27], v[112:113], v[132:133]
	v_fma_f64 v[132:133], v[108:109], s[18:19], -v[120:121]
	v_add_f64 v[132:133], v[132:133], v[136:137]
	v_mul_f64 v[136:137], v[114:115], s[38:39]
	v_fmac_f64_e32 v[120:121], s[18:19], v[108:109]
	v_add_f64 v[120:121], v[120:121], v[122:123]
	v_fma_f64 v[122:123], v[112:113], s[18:19], -v[136:137]
	v_add_f64 v[122:123], v[122:123], v[126:127]
	v_mul_f64 v[126:127], v[116:117], s[16:17]
	v_add_f64 v[138:139], v[196:197], v[138:139]
	v_fma_f64 v[196:197], s[18:19], v[112:113], v[136:137]
	v_fma_f64 v[136:137], v[108:109], s[14:15], -v[126:127]
	v_add_f64 v[136:137], v[136:137], v[140:141]
	v_mul_f64 v[140:141], v[114:115], s[16:17]
	v_fmac_f64_e32 v[126:127], s[14:15], v[108:109]
	v_add_f64 v[150:151], v[196:197], v[150:151]
	v_fma_f64 v[196:197], s[14:15], v[112:113], v[140:141]
	v_add_f64 v[126:127], v[126:127], v[134:135]
	v_fma_f64 v[134:135], v[112:113], s[14:15], -v[140:141]
	v_mul_f64 v[140:141], v[116:117], s[44:45]
	v_add_f64 v[134:135], v[134:135], v[142:143]
	v_fma_f64 v[142:143], v[108:109], s[30:31], -v[140:141]
	v_add_f64 v[142:143], v[142:143], v[146:147]
	v_mul_f64 v[146:147], v[114:115], s[44:45]
	v_fmac_f64_e32 v[140:141], s[30:31], v[108:109]
	v_add_f64 v[234:235], v[234:235], v[242:243]
	v_fma_f64 v[198:199], s[30:31], v[112:113], v[146:147]
	v_add_f64 v[140:141], v[140:141], v[144:145]
	v_fma_f64 v[144:145], v[112:113], s[30:31], -v[146:147]
	v_mul_f64 v[146:147], v[116:117], s[40:41]
	v_add_f64 v[232:233], v[232:233], v[236:237]
	v_add_f64 v[226:227], v[226:227], v[234:235]
	;; [unrolled: 1-line block ×4, first 2 shown]
	v_fma_f64 v[148:149], v[108:109], s[12:13], -v[146:147]
	v_mul_f64 v[200:201], v[114:115], s[40:41]
	v_mul_f64 v[114:115], v[114:115], s[24:25]
	v_add_f64 v[230:231], v[230:231], v[240:241]
	v_add_f64 v[224:225], v[224:225], v[232:233]
	;; [unrolled: 1-line block ×5, first 2 shown]
	v_fmac_f64_e32 v[146:147], s[12:13], v[108:109]
	v_mul_f64 v[116:117], v[116:117], s[24:25]
	v_fma_f64 v[206:207], s[22:23], v[112:113], v[114:115]
	v_add_f64 v[222:223], v[222:223], v[230:231]
	v_add_f64 v[216:217], v[216:217], v[224:225]
	;; [unrolled: 1-line block ×4, first 2 shown]
	v_fma_f64 v[204:205], s[12:13], v[112:113], v[200:201]
	v_add_f64 v[146:147], v[146:147], v[202:203]
	v_fma_f64 v[200:201], v[112:113], s[12:13], -v[200:201]
	v_fma_f64 v[202:203], v[108:109], s[22:23], -v[116:117]
	v_add_f64 v[206:207], v[206:207], v[218:219]
	v_fmac_f64_e32 v[116:117], s[22:23], v[108:109]
	v_add_f64 v[218:219], v[192:193], v[194:195]
	v_add_f64 v[192:193], v[192:193], -v[194:195]
	v_add_f64 v[214:215], v[214:215], v[222:223]
	v_add_f64 v[204:205], v[204:205], v[216:217]
	;; [unrolled: 1-line block ×4, first 2 shown]
	v_fma_f64 v[100:101], v[112:113], s[22:23], -v[114:115]
	v_add_f64 v[216:217], v[128:129], v[124:125]
	v_add_f64 v[220:221], v[128:129], -v[124:125]
	v_mul_f64 v[108:109], v[192:193], s[34:35]
	v_add_f64 v[202:203], v[202:203], v[214:215]
	v_add_f64 v[214:215], v[100:101], v[102:103]
	v_fma_f64 v[100:101], v[216:217], s[30:31], -v[108:109]
	v_mul_f64 v[112:113], v[220:221], s[34:35]
	v_fmac_f64_e32 v[108:109], s[30:31], v[216:217]
	v_add_f64 v[108:109], v[108:109], v[110:111]
	v_fma_f64 v[110:111], v[218:219], s[30:31], -v[112:113]
	v_mul_f64 v[116:117], v[192:193], s[40:41]
	v_fma_f64 v[102:103], s[30:31], v[218:219], v[112:113]
	v_add_f64 v[110:111], v[110:111], v[118:119]
	v_fma_f64 v[112:113], v[216:217], s[12:13], -v[116:117]
	v_mul_f64 v[118:119], v[220:221], s[40:41]
	v_fmac_f64_e32 v[116:117], s[12:13], v[216:217]
	v_mul_f64 v[124:125], v[192:193], s[28:29]
	v_add_f64 v[112:113], v[112:113], v[132:133]
	v_fma_f64 v[114:115], s[12:13], v[218:219], v[118:119]
	v_add_f64 v[116:117], v[116:117], v[120:121]
	v_fma_f64 v[118:119], v[218:219], s[12:13], -v[118:119]
	v_fma_f64 v[120:121], v[216:217], s[26:27], -v[124:125]
	v_mul_f64 v[128:129], v[220:221], s[28:29]
	v_fmac_f64_e32 v[124:125], s[26:27], v[216:217]
	v_mul_f64 v[132:133], v[192:193], s[46:47]
	v_add_f64 v[118:119], v[118:119], v[122:123]
	v_fma_f64 v[122:123], s[26:27], v[218:219], v[128:129]
	v_add_f64 v[124:125], v[124:125], v[126:127]
	v_fma_f64 v[126:127], v[218:219], s[26:27], -v[128:129]
	v_fma_f64 v[128:129], v[216:217], s[14:15], -v[132:133]
	v_fmac_f64_e32 v[132:133], s[14:15], v[216:217]
	v_add_f64 v[132:133], v[132:133], v[140:141]
	v_mul_f64 v[140:141], v[192:193], s[24:25]
	v_add_f64 v[120:121], v[120:121], v[136:137]
	v_add_f64 v[126:127], v[126:127], v[134:135]
	v_mul_f64 v[134:135], v[220:221], s[46:47]
	v_fma_f64 v[136:137], v[216:217], s[22:23], -v[140:141]
	v_add_f64 v[100:101], v[100:101], v[130:131]
	v_add_f64 v[114:115], v[114:115], v[150:151]
	;; [unrolled: 1-line block ×3, first 2 shown]
	v_fma_f64 v[130:131], s[14:15], v[218:219], v[134:135]
	v_fma_f64 v[134:135], v[218:219], s[14:15], -v[134:135]
	v_add_f64 v[136:137], v[136:137], v[148:149]
	v_mul_f64 v[142:143], v[220:221], s[24:25]
	v_fmac_f64_e32 v[140:141], s[22:23], v[216:217]
	v_mul_f64 v[148:149], v[192:193], s[38:39]
	v_mul_f64 v[150:151], v[220:221], s[38:39]
	v_add_f64 v[102:103], v[102:103], v[138:139]
	v_add_f64 v[134:135], v[134:135], v[144:145]
	v_fma_f64 v[138:139], s[22:23], v[218:219], v[142:143]
	v_add_f64 v[140:141], v[140:141], v[146:147]
	v_fma_f64 v[142:143], v[218:219], s[22:23], -v[142:143]
	v_fma_f64 v[144:145], v[216:217], s[18:19], -v[148:149]
	v_fma_f64 v[146:147], s[18:19], v[218:219], v[150:151]
	v_fmac_f64_e32 v[148:149], s[18:19], v[216:217]
	v_fma_f64 v[150:151], v[218:219], s[18:19], -v[150:151]
	v_add_f64 v[122:123], v[122:123], v[196:197]
	v_add_f64 v[130:131], v[130:131], v[198:199]
	;; [unrolled: 1-line block ×8, first 2 shown]
	ds_write_b128 v187, v[104:107]
	ds_write_b128 v187, v[100:103] offset:64
	ds_write_b128 v187, v[112:115] offset:128
	ds_write_b128 v187, v[120:123] offset:192
	ds_write_b128 v187, v[128:131] offset:256
	ds_write_b128 v187, v[136:139] offset:320
	ds_write_b128 v187, v[144:147] offset:384
	ds_write_b128 v187, v[148:151] offset:448
	ds_write_b128 v187, v[140:143] offset:512
	ds_write_b128 v187, v[132:135] offset:576
	ds_write_b128 v187, v[124:127] offset:640
	ds_write_b128 v187, v[116:119] offset:704
	ds_write_b128 v187, v[108:111] offset:768
	s_and_saveexec_b64 s[48:49], s[2:3]
	s_cbranch_execz .LBB0_23
; %bb.22:
	v_mul_f64 v[100:101], v[24:25], v[86:87]
	v_fmac_f64_e32 v[100:101], v[26:27], v[84:85]
	v_mul_f64 v[26:27], v[26:27], v[86:87]
	v_mul_f64 v[102:103], v[32:33], v[82:83]
	v_fma_f64 v[84:85], v[24:25], v[84:85], -v[26:27]
	v_mul_f64 v[24:25], v[34:35], v[82:83]
	v_fmac_f64_e32 v[102:103], v[34:35], v[80:81]
	v_fma_f64 v[32:33], v[32:33], v[80:81], -v[24:25]
	v_mul_f64 v[80:81], v[20:21], v[70:71]
	v_fmac_f64_e32 v[80:81], v[22:23], v[68:69]
	v_mul_f64 v[22:23], v[22:23], v[70:71]
	v_mul_f64 v[82:83], v[28:29], v[74:75]
	v_fma_f64 v[68:69], v[20:21], v[68:69], -v[22:23]
	v_mul_f64 v[20:21], v[30:31], v[74:75]
	v_fmac_f64_e32 v[82:83], v[30:31], v[72:73]
	v_fma_f64 v[34:35], v[28:29], v[72:73], -v[20:21]
	v_mul_f64 v[72:73], v[16:17], v[66:67]
	v_mul_f64 v[74:75], v[12:13], v[62:63]
	v_fmac_f64_e32 v[72:73], v[18:19], v[64:65]
	v_mul_f64 v[70:71], v[48:49], v[98:99]
	v_mul_f64 v[18:19], v[18:19], v[66:67]
	v_fmac_f64_e32 v[74:75], v[14:15], v[60:61]
	v_mul_f64 v[14:15], v[14:15], v[62:63]
	v_fmac_f64_e32 v[70:71], v[50:51], v[96:97]
	v_fma_f64 v[64:65], v[16:17], v[64:65], -v[18:19]
	v_mul_f64 v[16:17], v[50:51], v[98:99]
	v_mul_f64 v[66:67], v[44:45], v[94:95]
	v_fma_f64 v[50:51], v[12:13], v[60:61], -v[14:15]
	v_mul_f64 v[60:61], v[8:9], v[58:59]
	v_fmac_f64_e32 v[66:67], v[46:47], v[92:93]
	v_mul_f64 v[12:13], v[46:47], v[94:95]
	v_fmac_f64_e32 v[60:61], v[10:11], v[56:57]
	v_mul_f64 v[46:47], v[40:41], v[90:91]
	v_mul_f64 v[10:11], v[10:11], v[58:59]
	;; [unrolled: 1-line block ×3, first 2 shown]
	v_fmac_f64_e32 v[46:47], v[42:43], v[88:89]
	v_fma_f64 v[56:57], v[8:9], v[56:57], -v[10:11]
	v_mul_f64 v[8:9], v[42:43], v[90:91]
	v_fmac_f64_e32 v[58:59], v[6:7], v[52:53]
	v_mul_f64 v[42:43], v[36:37], v[78:79]
	v_mul_f64 v[6:7], v[6:7], v[54:55]
	v_fmac_f64_e32 v[42:43], v[38:39], v[76:77]
	v_fma_f64 v[52:53], v[4:5], v[52:53], -v[6:7]
	v_mul_f64 v[4:5], v[38:39], v[78:79]
	v_add_f64 v[114:115], v[58:59], v[42:43]
	v_fma_f64 v[36:37], v[36:37], v[76:77], -v[4:5]
	v_add_f64 v[112:113], v[60:61], v[46:47]
	v_fma_f64 v[40:41], v[40:41], v[88:89], -v[8:9]
	v_mul_f64 v[10:11], v[114:115], s[30:31]
	v_add_f64 v[38:39], v[52:53], -v[36:37]
	v_add_f64 v[98:99], v[74:75], v[66:67]
	v_fma_f64 v[44:45], v[44:45], v[92:93], -v[12:13]
	v_mul_f64 v[14:15], v[112:113], s[12:13]
	v_add_f64 v[88:89], v[56:57], -v[40:41]
	v_fma_f64 v[4:5], s[44:45], v[38:39], v[10:11]
	v_add_f64 v[110:111], v[72:73], v[70:71]
	v_fma_f64 v[48:49], v[48:49], v[96:97], -v[16:17]
	v_mul_f64 v[18:19], v[98:99], s[26:27]
	v_add_f64 v[62:63], v[50:51], -v[44:45]
	v_fma_f64 v[8:9], s[10:11], v[88:89], v[14:15]
	v_add_f64 v[4:5], v[2:3], v[4:5]
	v_add_f64 v[126:127], v[58:59], -v[42:43]
	v_add_f64 v[108:109], v[80:81], v[82:83]
	v_mul_f64 v[22:23], v[110:111], s[14:15]
	v_add_f64 v[96:97], v[64:65], -v[48:49]
	v_fma_f64 v[12:13], s[36:37], v[62:63], v[18:19]
	v_add_f64 v[4:5], v[8:9], v[4:5]
	v_add_f64 v[124:125], v[60:61], -v[46:47]
	v_add_f64 v[94:95], v[52:53], v[36:37]
	v_mul_f64 v[134:135], v[126:127], s[34:35]
	v_fmac_f64_e32 v[10:11], s[34:35], v[38:39]
	v_add_f64 v[106:107], v[100:101], v[102:103]
	v_mul_f64 v[26:27], v[108:109], s[22:23]
	v_add_f64 v[104:105], v[68:69], -v[34:35]
	v_fma_f64 v[16:17], s[16:17], v[96:97], v[22:23]
	v_add_f64 v[4:5], v[12:13], v[4:5]
	v_add_f64 v[122:123], v[74:75], -v[66:67]
	v_add_f64 v[92:93], v[56:57], v[40:41]
	v_mul_f64 v[130:131], v[124:125], s[40:41]
	v_fma_f64 v[136:137], s[30:31], v[94:95], v[134:135]
	v_fmac_f64_e32 v[14:15], s[40:41], v[88:89]
	v_add_f64 v[10:11], v[2:3], v[10:11]
	v_mul_f64 v[128:129], v[106:107], s[18:19]
	v_add_f64 v[86:87], v[84:85], -v[32:33]
	v_fma_f64 v[20:21], s[42:43], v[104:105], v[26:27]
	v_add_f64 v[4:5], v[16:17], v[4:5]
	v_add_f64 v[120:121], v[72:73], -v[70:71]
	v_add_f64 v[90:91], v[50:51], v[44:45]
	v_mul_f64 v[28:29], v[122:123], s[28:29]
	v_fma_f64 v[132:133], s[12:13], v[92:93], v[130:131]
	v_add_f64 v[136:137], v[0:1], v[136:137]
	v_fmac_f64_e32 v[18:19], s[28:29], v[62:63]
	v_add_f64 v[10:11], v[14:15], v[10:11]
	v_fma_f64 v[24:25], s[20:21], v[86:87], v[128:129]
	v_add_f64 v[4:5], v[20:21], v[4:5]
	v_add_f64 v[118:119], v[80:81], -v[82:83]
	v_add_f64 v[78:79], v[64:65], v[48:49]
	v_mul_f64 v[20:21], v[120:121], s[46:47]
	v_fma_f64 v[30:31], s[26:27], v[90:91], v[28:29]
	v_add_f64 v[132:133], v[132:133], v[136:137]
	v_fmac_f64_e32 v[22:23], s[46:47], v[96:97]
	v_add_f64 v[10:11], v[18:19], v[10:11]
	v_add_f64 v[6:7], v[24:25], v[4:5]
	v_add_f64 v[116:117], v[100:101], -v[102:103]
	v_add_f64 v[76:77], v[68:69], v[34:35]
	v_mul_f64 v[12:13], v[118:119], s[24:25]
	v_fma_f64 v[24:25], s[14:15], v[78:79], v[20:21]
	v_add_f64 v[30:31], v[30:31], v[132:133]
	v_fmac_f64_e32 v[26:27], s[24:25], v[104:105]
	v_add_f64 v[10:11], v[22:23], v[10:11]
	v_add_f64 v[54:55], v[84:85], v[32:33]
	v_mul_f64 v[8:9], v[116:117], s[38:39]
	v_fma_f64 v[16:17], s[22:23], v[76:77], v[12:13]
	v_add_f64 v[24:25], v[24:25], v[30:31]
	v_fmac_f64_e32 v[128:129], s[38:39], v[86:87]
	v_add_f64 v[10:11], v[26:27], v[10:11]
	v_fma_f64 v[4:5], s[18:19], v[54:55], v[8:9]
	v_add_f64 v[16:17], v[16:17], v[24:25]
	v_add_f64 v[10:11], v[128:129], v[10:11]
	v_fma_f64 v[14:15], v[78:79], s[14:15], -v[20:21]
	v_fma_f64 v[20:21], v[94:95], s[30:31], -v[134:135]
	v_mul_f64 v[128:129], v[114:115], s[26:27]
	v_add_f64 v[4:5], v[4:5], v[16:17]
	v_fma_f64 v[16:17], v[90:91], s[26:27], -v[28:29]
	v_fma_f64 v[18:19], v[92:93], s[12:13], -v[130:131]
	v_add_f64 v[20:21], v[0:1], v[20:21]
	v_mul_f64 v[28:29], v[112:113], s[18:19]
	v_fma_f64 v[130:131], s[36:37], v[38:39], v[128:129]
	v_mul_f64 v[142:143], v[126:127], s[28:29]
	v_add_f64 v[18:19], v[18:19], v[20:21]
	v_mul_f64 v[24:25], v[98:99], s[14:15]
	v_fma_f64 v[30:31], s[20:21], v[88:89], v[28:29]
	v_add_f64 v[130:131], v[2:3], v[130:131]
	v_mul_f64 v[138:139], v[124:125], s[38:39]
	v_fma_f64 v[144:145], s[26:27], v[94:95], v[142:143]
	;; [unrolled: 3-line block ×4, first 2 shown]
	v_add_f64 v[144:145], v[0:1], v[144:145]
	v_fma_f64 v[12:13], v[76:77], s[22:23], -v[12:13]
	v_add_f64 v[14:15], v[14:15], v[16:17]
	v_mul_f64 v[18:19], v[108:109], s[12:13]
	v_fma_f64 v[22:23], s[34:35], v[96:97], v[20:21]
	v_add_f64 v[26:27], v[26:27], v[30:31]
	v_mul_f64 v[130:131], v[120:121], s[44:45]
	v_fma_f64 v[136:137], s[14:15], v[90:91], v[134:135]
	v_add_f64 v[140:141], v[140:141], v[144:145]
	v_fma_f64 v[8:9], v[54:55], s[18:19], -v[8:9]
	v_add_f64 v[12:13], v[12:13], v[14:15]
	v_mul_f64 v[16:17], v[106:107], s[22:23]
	v_fma_f64 v[14:15], s[10:11], v[104:105], v[18:19]
	v_add_f64 v[22:23], v[22:23], v[26:27]
	v_mul_f64 v[26:27], v[118:119], s[40:41]
	v_fma_f64 v[132:133], s[30:31], v[78:79], v[130:131]
	v_add_f64 v[136:137], v[136:137], v[140:141]
	v_add_f64 v[8:9], v[8:9], v[12:13]
	v_fma_f64 v[12:13], s[42:43], v[86:87], v[16:17]
	v_add_f64 v[14:15], v[14:15], v[22:23]
	v_mul_f64 v[22:23], v[116:117], s[24:25]
	v_fma_f64 v[30:31], s[12:13], v[76:77], v[26:27]
	v_add_f64 v[132:133], v[132:133], v[136:137]
	v_add_f64 v[14:15], v[12:13], v[14:15]
	v_fma_f64 v[12:13], s[22:23], v[54:55], v[22:23]
	v_add_f64 v[30:31], v[30:31], v[132:133]
	v_fmac_f64_e32 v[128:129], s[28:29], v[38:39]
	v_add_f64 v[12:13], v[12:13], v[30:31]
	v_fmac_f64_e32 v[28:29], s[38:39], v[88:89]
	v_add_f64 v[30:31], v[2:3], v[128:129]
	v_fmac_f64_e32 v[24:25], s[16:17], v[62:63]
	v_add_f64 v[28:29], v[28:29], v[30:31]
	v_fmac_f64_e32 v[20:21], s[44:45], v[96:97]
	v_add_f64 v[24:25], v[24:25], v[28:29]
	v_fmac_f64_e32 v[18:19], s[40:41], v[104:105]
	v_add_f64 v[20:21], v[20:21], v[24:25]
	v_fma_f64 v[28:29], v[94:95], s[26:27], -v[142:143]
	v_mul_f64 v[136:137], v[114:115], s[22:23]
	v_add_f64 v[18:19], v[18:19], v[20:21]
	v_fma_f64 v[20:21], v[76:77], s[12:13], -v[26:27]
	v_fma_f64 v[26:27], v[92:93], s[18:19], -v[138:139]
	v_add_f64 v[28:29], v[0:1], v[28:29]
	v_mul_f64 v[132:133], v[112:113], s[26:27]
	v_fma_f64 v[138:139], s[42:43], v[38:39], v[136:137]
	v_mul_f64 v[150:151], v[126:127], s[24:25]
	v_fmac_f64_e32 v[16:17], s[24:25], v[86:87]
	v_fma_f64 v[24:25], v[90:91], s[14:15], -v[134:135]
	v_add_f64 v[26:27], v[26:27], v[28:29]
	v_mul_f64 v[128:129], v[98:99], s[12:13]
	v_fma_f64 v[134:135], s[28:29], v[88:89], v[132:133]
	v_add_f64 v[138:139], v[2:3], v[138:139]
	v_mul_f64 v[146:147], v[124:125], s[36:37]
	v_fma_f64 v[192:193], s[22:23], v[94:95], v[150:151]
	v_add_f64 v[18:19], v[16:17], v[18:19]
	v_fma_f64 v[16:17], v[54:55], s[22:23], -v[22:23]
	v_fma_f64 v[22:23], v[78:79], s[30:31], -v[130:131]
	v_add_f64 v[24:25], v[24:25], v[26:27]
	v_mul_f64 v[28:29], v[110:111], s[18:19]
	v_fma_f64 v[130:131], s[10:11], v[62:63], v[128:129]
	v_add_f64 v[134:135], v[134:135], v[138:139]
	v_mul_f64 v[142:143], v[122:123], s[40:41]
	v_fma_f64 v[148:149], s[26:27], v[92:93], v[146:147]
	v_add_f64 v[192:193], v[0:1], v[192:193]
	v_add_f64 v[22:23], v[22:23], v[24:25]
	v_mul_f64 v[26:27], v[108:109], s[30:31]
	v_fma_f64 v[30:31], s[38:39], v[96:97], v[28:29]
	v_add_f64 v[130:131], v[130:131], v[134:135]
	v_mul_f64 v[138:139], v[120:121], s[20:21]
	v_fma_f64 v[144:145], s[12:13], v[90:91], v[142:143]
	v_add_f64 v[148:149], v[148:149], v[192:193]
	v_add_f64 v[20:21], v[20:21], v[22:23]
	v_mul_f64 v[24:25], v[106:107], s[14:15]
	v_fma_f64 v[22:23], s[34:35], v[104:105], v[26:27]
	v_add_f64 v[30:31], v[30:31], v[130:131]
	v_mul_f64 v[130:131], v[118:119], s[44:45]
	v_fma_f64 v[140:141], s[18:19], v[78:79], v[138:139]
	v_add_f64 v[144:145], v[144:145], v[148:149]
	v_add_f64 v[16:17], v[16:17], v[20:21]
	v_fma_f64 v[20:21], s[16:17], v[86:87], v[24:25]
	v_add_f64 v[22:23], v[22:23], v[30:31]
	v_mul_f64 v[30:31], v[116:117], s[46:47]
	v_fma_f64 v[134:135], s[30:31], v[76:77], v[130:131]
	v_add_f64 v[140:141], v[140:141], v[144:145]
	v_add_f64 v[22:23], v[20:21], v[22:23]
	v_fma_f64 v[20:21], s[14:15], v[54:55], v[30:31]
	v_add_f64 v[134:135], v[134:135], v[140:141]
	v_fmac_f64_e32 v[136:137], s[24:25], v[38:39]
	v_add_f64 v[20:21], v[20:21], v[134:135]
	v_fmac_f64_e32 v[132:133], s[36:37], v[88:89]
	v_add_f64 v[134:135], v[2:3], v[136:137]
	v_fmac_f64_e32 v[128:129], s[40:41], v[62:63]
	v_add_f64 v[132:133], v[132:133], v[134:135]
	v_fmac_f64_e32 v[28:29], s[20:21], v[96:97]
	v_add_f64 v[128:129], v[128:129], v[132:133]
	v_fmac_f64_e32 v[26:27], s[44:45], v[104:105]
	v_add_f64 v[28:29], v[28:29], v[128:129]
	v_fma_f64 v[132:133], v[94:95], s[22:23], -v[150:151]
	v_mul_f64 v[144:145], v[114:115], s[18:19]
	v_add_f64 v[26:27], v[26:27], v[28:29]
	v_fma_f64 v[28:29], v[76:77], s[30:31], -v[130:131]
	v_fma_f64 v[130:131], v[92:93], s[26:27], -v[146:147]
	v_add_f64 v[132:133], v[0:1], v[132:133]
	v_mul_f64 v[140:141], v[112:113], s[30:31]
	v_fma_f64 v[146:147], s[38:39], v[38:39], v[144:145]
	v_mul_f64 v[198:199], v[126:127], s[20:21]
	v_fmac_f64_e32 v[24:25], s[46:47], v[86:87]
	v_fma_f64 v[128:129], v[90:91], s[12:13], -v[142:143]
	v_add_f64 v[130:131], v[130:131], v[132:133]
	v_mul_f64 v[136:137], v[98:99], s[22:23]
	v_fma_f64 v[142:143], s[44:45], v[88:89], v[140:141]
	v_add_f64 v[146:147], v[2:3], v[146:147]
	v_mul_f64 v[194:195], v[124:125], s[34:35]
	v_fma_f64 v[200:201], s[18:19], v[94:95], v[198:199]
	v_add_f64 v[26:27], v[24:25], v[26:27]
	v_fma_f64 v[24:25], v[54:55], s[14:15], -v[30:31]
	v_fma_f64 v[30:31], v[78:79], s[18:19], -v[138:139]
	v_add_f64 v[128:129], v[128:129], v[130:131]
	v_mul_f64 v[132:133], v[110:111], s[12:13]
	v_fma_f64 v[138:139], s[24:25], v[62:63], v[136:137]
	v_add_f64 v[142:143], v[142:143], v[146:147]
	v_mul_f64 v[150:151], v[122:123], s[42:43]
	v_fma_f64 v[196:197], s[30:31], v[92:93], v[194:195]
	v_add_f64 v[200:201], v[0:1], v[200:201]
	v_add_f64 v[30:31], v[30:31], v[128:129]
	v_mul_f64 v[130:131], v[108:109], s[14:15]
	v_fma_f64 v[134:135], s[10:11], v[96:97], v[132:133]
	v_add_f64 v[138:139], v[138:139], v[142:143]
	v_mul_f64 v[146:147], v[120:121], s[40:41]
	v_fma_f64 v[192:193], s[22:23], v[90:91], v[150:151]
	v_add_f64 v[196:197], v[196:197], v[200:201]
	;; [unrolled: 60-line block ×3, first 2 shown]
	v_add_f64 v[132:133], v[132:133], v[134:135]
	v_mul_f64 v[136:137], v[106:107], s[12:13]
	v_fma_f64 v[134:135], s[20:21], v[104:105], v[138:139]
	v_add_f64 v[142:143], v[142:143], v[146:147]
	v_mul_f64 v[146:147], v[118:119], s[38:39]
	v_fma_f64 v[196:197], s[26:27], v[78:79], v[194:195]
	v_add_f64 v[200:201], v[200:201], v[204:205]
	v_add_f64 v[128:129], v[128:129], v[132:133]
	v_fma_f64 v[132:133], s[10:11], v[86:87], v[136:137]
	v_add_f64 v[134:135], v[134:135], v[142:143]
	v_mul_f64 v[142:143], v[116:117], s[40:41]
	v_fma_f64 v[150:151], s[18:19], v[76:77], v[146:147]
	v_add_f64 v[196:197], v[196:197], v[200:201]
	v_add_f64 v[134:135], v[132:133], v[134:135]
	v_fma_f64 v[132:133], s[12:13], v[54:55], v[142:143]
	v_add_f64 v[150:151], v[150:151], v[196:197]
	v_fmac_f64_e32 v[192:193], s[16:17], v[38:39]
	v_add_f64 v[132:133], v[132:133], v[150:151]
	v_fmac_f64_e32 v[148:149], s[24:25], v[88:89]
	;; [unrolled: 2-line block ×5, first 2 shown]
	v_add_f64 v[140:141], v[140:141], v[144:145]
	v_fma_f64 v[148:149], v[94:95], s[14:15], -v[206:207]
	v_add_f64 v[138:139], v[138:139], v[140:141]
	v_fma_f64 v[140:141], v[76:77], s[18:19], -v[146:147]
	v_fma_f64 v[146:147], v[92:93], s[22:23], -v[202:203]
	v_add_f64 v[148:149], v[0:1], v[148:149]
	v_fmac_f64_e32 v[136:137], s[40:41], v[86:87]
	v_fma_f64 v[144:145], v[90:91], s[30:31], -v[198:199]
	v_add_f64 v[146:147], v[146:147], v[148:149]
	v_add_f64 v[138:139], v[136:137], v[138:139]
	v_fma_f64 v[136:137], v[54:55], s[12:13], -v[142:143]
	v_fma_f64 v[142:143], v[78:79], s[26:27], -v[194:195]
	v_add_f64 v[144:145], v[144:145], v[146:147]
	v_add_f64 v[142:143], v[142:143], v[144:145]
	;; [unrolled: 1-line block ×4, first 2 shown]
	v_mul_f64 v[140:141], v[106:107], s[30:31]
	v_mul_f64 v[114:115], v[114:115], s[12:13]
	v_mul_f64 v[126:127], v[126:127], s[10:11]
	v_fma_f64 v[106:107], s[44:45], v[86:87], v[140:141]
	v_fma_f64 v[150:151], s[40:41], v[38:39], v[114:115]
	;; [unrolled: 1-line block ×3, first 2 shown]
	v_fmac_f64_e32 v[140:141], s[34:35], v[86:87]
	v_fmac_f64_e32 v[114:115], s[10:11], v[38:39]
	v_fma_f64 v[86:87], v[94:95], s[12:13], -v[126:127]
	v_add_f64 v[150:151], v[2:3], v[150:151]
	v_add_f64 v[192:193], v[0:1], v[192:193]
	;; [unrolled: 1-line block ×8, first 2 shown]
	v_mul_f64 v[112:113], v[112:113], s[14:15]
	v_add_f64 v[2:3], v[2:3], v[74:75]
	v_add_f64 v[0:1], v[0:1], v[50:51]
	v_mul_f64 v[98:99], v[98:99], s[18:19]
	v_fma_f64 v[148:149], s[46:47], v[88:89], v[112:113]
	v_fmac_f64_e32 v[112:113], s[16:17], v[88:89]
	v_add_f64 v[2:3], v[2:3], v[72:73]
	v_add_f64 v[0:1], v[0:1], v[64:65]
	v_mul_f64 v[110:111], v[110:111], s[22:23]
	v_fma_f64 v[146:147], s[38:39], v[62:63], v[98:99]
	v_add_f64 v[148:149], v[148:149], v[150:151]
	v_fmac_f64_e32 v[98:99], s[20:21], v[62:63]
	v_add_f64 v[38:39], v[112:113], v[38:39]
	v_add_f64 v[2:3], v[2:3], v[80:81]
	;; [unrolled: 1-line block ×3, first 2 shown]
	v_mul_f64 v[142:143], v[108:109], s[26:27]
	v_fma_f64 v[144:145], s[42:43], v[96:97], v[110:111]
	v_add_f64 v[146:147], v[146:147], v[148:149]
	v_fmac_f64_e32 v[110:111], s[24:25], v[96:97]
	v_add_f64 v[38:39], v[98:99], v[38:39]
	v_add_f64 v[2:3], v[2:3], v[100:101]
	;; [unrolled: 1-line block ×3, first 2 shown]
	v_fma_f64 v[108:109], s[36:37], v[104:105], v[142:143]
	v_add_f64 v[144:145], v[144:145], v[146:147]
	v_mul_f64 v[120:121], v[120:121], s[24:25]
	v_mul_f64 v[124:125], v[124:125], s[16:17]
	v_fmac_f64_e32 v[142:143], s[28:29], v[104:105]
	v_add_f64 v[38:39], v[110:111], v[38:39]
	v_add_f64 v[2:3], v[2:3], v[102:103]
	;; [unrolled: 1-line block ×4, first 2 shown]
	v_mul_f64 v[116:117], v[116:117], s[34:35]
	v_mul_f64 v[118:119], v[118:119], s[28:29]
	v_fma_f64 v[146:147], s[22:23], v[78:79], v[120:121]
	v_mul_f64 v[122:123], v[122:123], s[20:21]
	v_fma_f64 v[150:151], s[14:15], v[92:93], v[124:125]
	v_add_f64 v[38:39], v[142:143], v[38:39]
	v_fma_f64 v[62:63], v[78:79], s[22:23], -v[120:121]
	v_fma_f64 v[78:79], v[92:93], s[14:15], -v[124:125]
	v_add_f64 v[2:3], v[2:3], v[82:83]
	v_add_f64 v[0:1], v[0:1], v[34:35]
	;; [unrolled: 1-line block ×3, first 2 shown]
	v_fma_f64 v[106:107], s[30:31], v[54:55], v[116:117]
	v_fma_f64 v[144:145], s[26:27], v[76:77], v[118:119]
	;; [unrolled: 1-line block ×3, first 2 shown]
	v_add_f64 v[150:151], v[150:151], v[192:193]
	v_add_f64 v[88:89], v[140:141], v[38:39]
	v_fma_f64 v[38:39], v[54:55], s[30:31], -v[116:117]
	v_fma_f64 v[54:55], v[76:77], s[26:27], -v[118:119]
	;; [unrolled: 1-line block ×3, first 2 shown]
	v_add_f64 v[78:79], v[78:79], v[86:87]
	v_add_f64 v[2:3], v[2:3], v[70:71]
	v_add_f64 v[0:1], v[0:1], v[48:49]
	v_lshrrev_b32_e32 v32, 2, v158
	v_add_f64 v[148:149], v[148:149], v[150:151]
	v_add_f64 v[76:77], v[76:77], v[78:79]
	;; [unrolled: 1-line block ×4, first 2 shown]
	v_mul_lo_u32 v32, v32, 52
	v_add_f64 v[146:147], v[146:147], v[148:149]
	v_add_f64 v[62:63], v[62:63], v[76:77]
	;; [unrolled: 1-line block ×4, first 2 shown]
	v_or_b32_e32 v32, v32, v185
	v_add_f64 v[144:145], v[144:145], v[146:147]
	v_add_f64 v[54:55], v[54:55], v[62:63]
	;; [unrolled: 1-line block ×4, first 2 shown]
	v_lshl_add_u32 v32, v32, 4, 0
	v_add_f64 v[106:107], v[106:107], v[144:145]
	v_add_f64 v[86:87], v[38:39], v[54:55]
	ds_write_b128 v32, v[0:3]
	ds_write_b128 v32, v[86:89] offset:64
	ds_write_b128 v32, v[136:139] offset:128
	;; [unrolled: 1-line block ×12, first 2 shown]
.LBB0_23:
	s_or_b64 exec, exec, s[48:49]
	v_mul_u32_u24_e32 v0, 6, v154
	v_lshlrev_b32_e32 v0, 4, v0
	s_movk_i32 s2, 0x4f
	s_waitcnt lgkmcnt(0)
	; wave barrier
	s_waitcnt lgkmcnt(0)
	global_load_dwordx4 v[4:7], v0, s[8:9] offset:800
	global_load_dwordx4 v[12:15], v0, s[8:9] offset:816
	;; [unrolled: 1-line block ×6, first 2 shown]
	v_mul_lo_u16_sdwa v0, v176, s2 dst_sel:DWORD dst_unused:UNUSED_PAD src0_sel:BYTE_0 src1_sel:DWORD
	v_lshrrev_b16_e32 v0, 12, v0
	v_mul_lo_u16_e32 v0, 52, v0
	v_sub_u16_e32 v0, v176, v0
	v_and_b32_e32 v62, 0xff, v0
	v_mul_u32_u24_e32 v0, 6, v62
	v_lshlrev_b32_e32 v63, 4, v0
	global_load_dwordx4 v[32:35], v63, s[8:9] offset:800
	global_load_dwordx4 v[44:47], v63, s[8:9] offset:816
	;; [unrolled: 1-line block ×4, first 2 shown]
	ds_read_b128 v[64:67], v163
	ds_read_b128 v[36:39], v163 offset:3328
	ds_read_b128 v[40:43], v163 offset:12480
	;; [unrolled: 1-line block ×3, first 2 shown]
	ds_read_b128 v[8:11], v171
	ds_read_b128 v[0:3], v169
	global_load_dwordx4 v[68:71], v63, s[8:9] offset:880
	global_load_dwordx4 v[72:75], v63, s[8:9] offset:864
	v_add_u32_e32 v61, v177, v181
	v_add_u32_e32 v60, v179, v183
	ds_read_b128 v[76:79], v163 offset:5824
	ds_read_b128 v[80:83], v163 offset:4160
	;; [unrolled: 1-line block ×10, first 2 shown]
	ds_read_b128 v[116:119], v167
	ds_read_b128 v[120:123], v61
	ds_read_b128 v[124:127], v163 offset:15808
	ds_read_b128 v[128:131], v163 offset:16640
	ds_read_b128 v[132:135], v60
	s_mov_b32 s10, 0x37e14327
	s_mov_b32 s2, 0x36b3c0b5
	;; [unrolled: 1-line block ×20, first 2 shown]
	s_waitcnt lgkmcnt(0)
	; wave barrier
	s_waitcnt lgkmcnt(0)
	v_mov_b32_e32 v179, 0
	v_mov_b32_e32 v191, v179
	;; [unrolled: 1-line block ×7, first 2 shown]
	s_waitcnt vmcnt(11)
	v_mul_f64 v[136:137], v[118:119], v[6:7]
	v_mul_f64 v[138:139], v[116:117], v[6:7]
	;; [unrolled: 1-line block ×4, first 2 shown]
	s_waitcnt vmcnt(10)
	v_mul_f64 v[140:141], v[122:123], v[14:15]
	s_waitcnt vmcnt(6)
	v_mul_f64 v[198:199], v[108:109], v[30:31]
	v_mul_f64 v[142:143], v[120:121], v[14:15]
	;; [unrolled: 1-line block ×10, first 2 shown]
	v_fma_f64 v[116:117], v[116:117], v[4:5], -v[136:137]
	v_fmac_f64_e32 v[138:139], v[118:119], v[4:5]
	v_fmac_f64_e32 v[198:199], v[110:111], v[28:29]
	v_fma_f64 v[110:111], v[36:37], v[4:5], -v[200:201]
	v_fmac_f64_e32 v[202:203], v[38:39], v[4:5]
	v_mul_f64 v[4:5], v[58:59], v[26:27]
	v_fmac_f64_e32 v[204:205], v[78:79], v[12:13]
	v_fma_f64 v[78:79], v[84:85], v[16:17], -v[14:15]
	v_fmac_f64_e32 v[206:207], v[86:87], v[16:17]
	v_fma_f64 v[84:85], v[100:101], v[20:21], -v[18:19]
	v_mul_f64 v[86:87], v[100:101], v[22:23]
	v_fma_f64 v[100:101], v[56:57], v[24:25], -v[4:5]
	v_mul_f64 v[4:5], v[126:127], v[30:31]
	v_fmac_f64_e32 v[142:143], v[122:123], v[12:13]
	v_fma_f64 v[122:123], v[124:125], v[28:29], -v[4:5]
	s_waitcnt vmcnt(5)
	v_mul_f64 v[4:5], v[82:83], v[34:35]
	v_mul_f64 v[150:151], v[92:93], v[22:23]
	;; [unrolled: 1-line block ×4, first 2 shown]
	v_fma_f64 v[36:37], v[80:81], v[32:33], -v[4:5]
	s_waitcnt vmcnt(4)
	v_mul_f64 v[4:5], v[90:91], v[46:47]
	v_mul_f64 v[148:149], v[94:95], v[22:23]
	v_fmac_f64_e32 v[150:151], v[94:95], v[20:21]
	v_fma_f64 v[94:95], v[40:41], v[24:25], -v[192:193]
	v_fmac_f64_e32 v[194:195], v[42:43], v[24:25]
	v_fma_f64 v[40:41], v[88:89], v[44:45], -v[4:5]
	v_mul_f64 v[42:43], v[88:89], v[46:47]
	s_waitcnt vmcnt(2)
	v_mul_f64 v[4:5], v[98:99], v[50:51]
	v_fmac_f64_e32 v[42:43], v[90:91], v[44:45]
	v_fma_f64 v[44:45], v[96:97], v[48:49], -v[4:5]
	v_mul_f64 v[46:47], v[96:97], v[50:51]
	v_mul_f64 v[4:5], v[106:107], v[54:55]
	v_fmac_f64_e32 v[46:47], v[98:99], v[48:49]
	v_fma_f64 v[48:49], v[104:105], v[52:53], -v[4:5]
	v_mul_f64 v[50:51], v[104:105], v[54:55]
	s_waitcnt vmcnt(0)
	v_mul_f64 v[4:5], v[114:115], v[74:75]
	v_fma_f64 v[118:119], v[120:121], v[12:13], -v[140:141]
	v_fma_f64 v[108:109], v[108:109], v[28:29], -v[196:197]
	v_fmac_f64_e32 v[50:51], v[106:107], v[52:53]
	v_fma_f64 v[52:53], v[112:113], v[72:73], -v[4:5]
	v_mul_f64 v[4:5], v[130:131], v[70:71]
	v_fma_f64 v[120:121], v[132:133], v[16:17], -v[144:145]
	v_fmac_f64_e32 v[146:147], v[134:135], v[16:17]
	v_fma_f64 v[92:93], v[92:93], v[20:21], -v[148:149]
	v_fmac_f64_e32 v[86:87], v[102:103], v[20:21]
	v_mul_f64 v[102:103], v[56:57], v[26:27]
	v_mul_f64 v[124:125], v[124:125], v[30:31]
	;; [unrolled: 1-line block ×3, first 2 shown]
	v_fma_f64 v[56:57], v[128:129], v[68:69], -v[4:5]
	v_add_f64 v[4:5], v[116:117], v[108:109]
	v_add_f64 v[16:17], v[118:119], v[94:95]
	v_fma_f64 v[76:77], v[76:77], v[12:13], -v[6:7]
	v_fmac_f64_e32 v[102:103], v[58:59], v[24:25]
	v_fmac_f64_e32 v[124:125], v[126:127], v[28:29]
	;; [unrolled: 1-line block ×3, first 2 shown]
	v_mul_f64 v[54:55], v[112:113], v[74:75]
	v_mul_f64 v[58:59], v[128:129], v[70:71]
	v_add_f64 v[6:7], v[138:139], v[198:199]
	v_add_f64 v[18:19], v[142:143], v[194:195]
	v_add_f64 v[20:21], v[118:119], -v[94:95]
	v_add_f64 v[24:25], v[120:121], v[92:93]
	v_add_f64 v[28:29], v[92:93], -v[120:121]
	v_add_f64 v[32:33], v[16:17], v[4:5]
	v_fmac_f64_e32 v[54:55], v[114:115], v[72:73]
	v_fmac_f64_e32 v[58:59], v[130:131], v[68:69]
	v_add_f64 v[12:13], v[116:117], -v[108:109]
	v_add_f64 v[22:23], v[142:143], -v[194:195]
	v_add_f64 v[26:27], v[146:147], v[150:151]
	v_add_f64 v[30:31], v[150:151], -v[146:147]
	v_add_f64 v[34:35], v[18:19], v[6:7]
	v_add_f64 v[68:69], v[16:17], -v[4:5]
	v_add_f64 v[72:73], v[4:5], -v[24:25]
	;; [unrolled: 1-line block ×3, first 2 shown]
	v_add_f64 v[4:5], v[28:29], v[20:21]
	v_add_f64 v[24:25], v[24:25], v[32:33]
	v_add_f64 v[14:15], v[138:139], -v[198:199]
	v_add_f64 v[70:71], v[18:19], -v[6:7]
	;; [unrolled: 1-line block ×4, first 2 shown]
	v_add_f64 v[6:7], v[30:31], v[22:23]
	v_add_f64 v[80:81], v[28:29], -v[20:21]
	v_add_f64 v[28:29], v[12:13], -v[28:29]
	;; [unrolled: 1-line block ×3, first 2 shown]
	v_add_f64 v[26:27], v[26:27], v[34:35]
	v_add_f64 v[12:13], v[4:5], v[12:13]
	;; [unrolled: 1-line block ×3, first 2 shown]
	v_add_f64 v[82:83], v[30:31], -v[22:23]
	v_add_f64 v[30:31], v[14:15], -v[30:31]
	;; [unrolled: 1-line block ×3, first 2 shown]
	v_add_f64 v[14:15], v[6:7], v[14:15]
	v_add_f64 v[6:7], v[66:67], v[26:27]
	v_mov_b64_e32 v[88:89], v[4:5]
	v_mul_f64 v[32:33], v[72:73], s[10:11]
	v_mul_f64 v[34:35], v[74:75], s[10:11]
	;; [unrolled: 1-line block ×8, first 2 shown]
	v_fmac_f64_e32 v[88:89], s[16:17], v[24:25]
	v_mov_b64_e32 v[24:25], v[6:7]
	v_fmac_f64_e32 v[24:25], s[16:17], v[26:27]
	v_fma_f64 v[26:27], v[68:69], s[18:19], -v[64:65]
	v_fma_f64 v[64:65], v[70:71], s[18:19], -v[66:67]
	;; [unrolled: 1-line block ×3, first 2 shown]
	v_fmac_f64_e32 v[32:33], s[2:3], v[16:17]
	v_fma_f64 v[16:17], v[70:71], s[20:21], -v[34:35]
	v_fmac_f64_e32 v[34:35], s[2:3], v[18:19]
	v_fma_f64 v[68:69], v[20:21], s[12:13], -v[72:73]
	;; [unrolled: 2-line block ×3, first 2 shown]
	v_fma_f64 v[28:29], v[30:31], s[26:27], -v[82:83]
	v_fma_f64 v[70:71], v[22:23], s[12:13], -v[74:75]
	v_fmac_f64_e32 v[74:75], s[22:23], v[30:31]
	v_add_f64 v[34:35], v[34:35], v[24:25]
	v_add_f64 v[30:31], v[64:65], v[24:25]
	;; [unrolled: 1-line block ×3, first 2 shown]
	v_fmac_f64_e32 v[72:73], s[24:25], v[12:13]
	v_fmac_f64_e32 v[28:29], s[24:25], v[14:15]
	v_add_f64 v[32:33], v[32:33], v[88:89]
	v_add_f64 v[26:27], v[26:27], v[88:89]
	v_add_f64 v[66:67], v[16:17], v[24:25]
	v_fmac_f64_e32 v[74:75], s[24:25], v[14:15]
	v_fmac_f64_e32 v[68:69], s[24:25], v[12:13]
	;; [unrolled: 1-line block ×4, first 2 shown]
	v_add_f64 v[14:15], v[34:35], -v[72:73]
	v_add_f64 v[16:17], v[28:29], v[64:65]
	v_add_f64 v[28:29], v[64:65], -v[28:29]
	v_add_f64 v[34:35], v[72:73], v[34:35]
	v_add_f64 v[64:65], v[110:111], v[122:123]
	;; [unrolled: 1-line block ×4, first 2 shown]
	v_add_f64 v[18:19], v[66:67], -v[80:81]
	v_add_f64 v[20:21], v[26:27], -v[70:71]
	v_add_f64 v[22:23], v[68:69], v[30:31]
	v_add_f64 v[24:25], v[70:71], v[26:27]
	v_add_f64 v[26:27], v[30:31], -v[68:69]
	v_add_f64 v[30:31], v[80:81], v[66:67]
	v_add_f64 v[32:33], v[32:33], -v[74:75]
	v_add_f64 v[66:67], v[202:203], v[124:125]
	v_add_f64 v[74:75], v[204:205], v[102:103]
	;; [unrolled: 1-line block ×4, first 2 shown]
	v_add_f64 v[78:79], v[84:85], -v[78:79]
	v_add_f64 v[84:85], v[86:87], -v[206:207]
	v_add_f64 v[86:87], v[72:73], v[64:65]
	v_add_f64 v[90:91], v[74:75], v[66:67]
	v_add_f64 v[92:93], v[72:73], -v[64:65]
	v_add_f64 v[64:65], v[64:65], -v[82:83]
	v_add_f64 v[72:73], v[82:83], -v[72:73]
	v_add_f64 v[82:83], v[82:83], v[86:87]
	v_add_f64 v[70:71], v[202:203], -v[124:125]
	v_add_f64 v[76:77], v[76:77], -v[100:101]
	v_add_f64 v[80:81], v[204:205], -v[102:103]
	v_add_f64 v[86:87], v[88:89], v[90:91]
	v_add_f64 v[8:9], v[8:9], v[82:83]
	v_add_f64 v[68:69], v[110:111], -v[122:123]
	v_add_f64 v[94:95], v[74:75], -v[66:67]
	v_add_f64 v[74:75], v[88:89], -v[74:75]
	v_add_f64 v[96:97], v[78:79], v[76:77]
	;; [unrolled: 5-line block ×3, first 2 shown]
	v_mov_b64_e32 v[104:105], v[8:9]
	v_add_f64 v[66:67], v[66:67], -v[88:89]
	v_add_f64 v[78:79], v[68:69], -v[78:79]
	;; [unrolled: 1-line block ×4, first 2 shown]
	v_add_f64 v[68:69], v[96:97], v[68:69]
	v_add_f64 v[70:71], v[98:99], v[70:71]
	v_mul_f64 v[64:65], v[64:65], s[10:11]
	v_mul_f64 v[88:89], v[72:73], s[2:3]
	;; [unrolled: 1-line block ×6, first 2 shown]
	v_fmac_f64_e32 v[104:105], s[16:17], v[82:83]
	v_mov_b64_e32 v[82:83], v[10:11]
	v_mul_f64 v[66:67], v[66:67], s[10:11]
	v_mul_f64 v[100:101], v[76:77], s[12:13]
	v_fmac_f64_e32 v[82:83], s[16:17], v[86:87]
	v_fma_f64 v[86:87], v[92:93], s[18:19], -v[88:89]
	v_fma_f64 v[88:89], v[94:95], s[18:19], -v[90:91]
	;; [unrolled: 1-line block ×6, first 2 shown]
	v_fmac_f64_e32 v[64:65], s[2:3], v[72:73]
	v_fma_f64 v[72:73], v[94:95], s[20:21], -v[66:67]
	v_fmac_f64_e32 v[96:97], s[22:23], v[78:79]
	v_fma_f64 v[94:95], v[78:79], s[26:27], -v[100:101]
	v_add_f64 v[78:79], v[86:87], v[104:105]
	v_add_f64 v[86:87], v[88:89], v[82:83]
	;; [unrolled: 1-line block ×3, first 2 shown]
	v_fmac_f64_e32 v[80:81], s[24:25], v[70:71]
	v_fmac_f64_e32 v[96:97], s[24:25], v[68:69]
	;; [unrolled: 1-line block ×4, first 2 shown]
	v_add_f64 v[68:69], v[80:81], v[88:89]
	v_add_f64 v[80:81], v[88:89], -v[80:81]
	v_add_f64 v[88:89], v[36:37], v[56:57]
	v_add_f64 v[36:37], v[36:37], -v[56:57]
	v_add_f64 v[56:57], v[40:41], v[52:53]
	v_add_f64 v[90:91], v[38:39], v[58:59]
	v_add_f64 v[38:39], v[38:39], -v[58:59]
	v_add_f64 v[58:59], v[42:43], v[54:55]
	v_add_f64 v[40:41], v[40:41], -v[52:53]
	v_add_f64 v[52:53], v[44:45], v[48:49]
	v_add_f64 v[44:45], v[48:49], -v[44:45]
	v_add_f64 v[48:49], v[56:57], v[88:89]
	v_fmac_f64_e32 v[66:67], s[2:3], v[74:75]
	v_fmac_f64_e32 v[98:99], s[22:23], v[84:85]
	v_add_f64 v[42:43], v[42:43], -v[54:55]
	v_add_f64 v[54:55], v[46:47], v[50:51]
	v_add_f64 v[46:47], v[50:51], -v[46:47]
	v_add_f64 v[50:51], v[58:59], v[90:91]
	v_add_f64 v[48:49], v[52:53], v[48:49]
	;; [unrolled: 1-line block ×5, first 2 shown]
	v_fmac_f64_e32 v[98:99], s[24:25], v[70:71]
	v_fmac_f64_e32 v[76:77], s[24:25], v[70:71]
	v_add_f64 v[50:51], v[54:55], v[50:51]
	v_add_f64 v[0:1], v[0:1], v[48:49]
	;; [unrolled: 1-line block ×3, first 2 shown]
	v_add_f64 v[66:67], v[100:101], -v[96:97]
	v_add_f64 v[70:71], v[82:83], -v[94:95]
	;; [unrolled: 1-line block ×3, first 2 shown]
	v_add_f64 v[74:75], v[92:93], v[86:87]
	v_add_f64 v[76:77], v[76:77], v[78:79]
	v_add_f64 v[78:79], v[86:87], -v[92:93]
	v_add_f64 v[82:83], v[94:95], v[82:83]
	v_add_f64 v[84:85], v[84:85], -v[98:99]
	;; [unrolled: 2-line block ×3, first 2 shown]
	v_add_f64 v[94:95], v[58:59], -v[90:91]
	v_add_f64 v[88:89], v[88:89], -v[52:53]
	;; [unrolled: 1-line block ×5, first 2 shown]
	v_add_f64 v[96:97], v[44:45], v[40:41]
	v_add_f64 v[98:99], v[46:47], v[42:43]
	v_add_f64 v[100:101], v[44:45], -v[40:41]
	v_add_f64 v[102:103], v[46:47], -v[42:43]
	v_add_f64 v[40:41], v[40:41], -v[36:37]
	v_add_f64 v[42:43], v[42:43], -v[38:39]
	v_add_f64 v[2:3], v[2:3], v[50:51]
	v_mov_b64_e32 v[104:105], v[0:1]
	v_add_f64 v[44:45], v[36:37], -v[44:45]
	v_add_f64 v[46:47], v[38:39], -v[46:47]
	v_add_f64 v[36:37], v[96:97], v[36:37]
	v_add_f64 v[38:39], v[98:99], v[38:39]
	v_mul_f64 v[52:53], v[88:89], s[10:11]
	v_mul_f64 v[54:55], v[90:91], s[10:11]
	;; [unrolled: 1-line block ×8, first 2 shown]
	v_fmac_f64_e32 v[104:105], s[16:17], v[48:49]
	v_mov_b64_e32 v[48:49], v[2:3]
	v_fmac_f64_e32 v[48:49], s[16:17], v[50:51]
	v_fma_f64 v[50:51], s[2:3], v[56:57], v[52:53]
	v_fma_f64 v[56:57], v[92:93], s[18:19], -v[88:89]
	v_fma_f64 v[88:89], v[94:95], s[18:19], -v[90:91]
	v_fma_f64 v[52:53], v[92:93], s[20:21], -v[52:53]
	v_fma_f64 v[90:91], v[94:95], s[20:21], -v[54:55]
	v_fmac_f64_e32 v[54:55], s[2:3], v[58:59]
	v_fma_f64 v[58:59], s[22:23], v[44:45], v[96:97]
	v_fma_f64 v[92:93], v[40:41], s[12:13], -v[96:97]
	v_fma_f64 v[94:95], v[42:43], s[12:13], -v[98:99]
	v_fmac_f64_e32 v[98:99], s[22:23], v[46:47]
	v_fma_f64 v[96:97], v[44:45], s[26:27], -v[100:101]
	v_fma_f64 v[100:101], v[46:47], s[26:27], -v[102:103]
	v_add_f64 v[102:103], v[50:51], v[104:105]
	v_add_f64 v[106:107], v[54:55], v[48:49]
	;; [unrolled: 1-line block ×6, first 2 shown]
	v_fmac_f64_e32 v[58:59], s[24:25], v[36:37]
	v_fmac_f64_e32 v[98:99], s[24:25], v[38:39]
	v_fmac_f64_e32 v[92:93], s[24:25], v[36:37]
	v_fmac_f64_e32 v[94:95], s[24:25], v[38:39]
	v_fmac_f64_e32 v[96:97], s[24:25], v[36:37]
	v_fmac_f64_e32 v[100:101], s[24:25], v[38:39]
	ds_write_b128 v163, v[4:7]
	ds_write_b128 v163, v[12:15] offset:832
	ds_write_b128 v163, v[16:19] offset:1664
	ds_write_b128 v163, v[20:23] offset:2496
	ds_write_b128 v163, v[24:27] offset:3328
	ds_write_b128 v163, v[28:31] offset:4160
	ds_write_b128 v163, v[32:35] offset:4992
	ds_write_b128 v163, v[8:11] offset:5824
	ds_write_b128 v163, v[64:67] offset:6656
	ds_write_b128 v163, v[68:71] offset:7488
	ds_write_b128 v163, v[72:75] offset:8320
	ds_write_b128 v163, v[76:79] offset:9152
	ds_write_b128 v163, v[80:83] offset:9984
	ds_write_b128 v163, v[84:87] offset:10816
	v_lshl_add_u32 v4, v62, 4, 0
	v_add_f64 v[36:37], v[98:99], v[102:103]
	v_add_f64 v[38:39], v[106:107], -v[58:59]
	v_add_f64 v[40:41], v[100:101], v[52:53]
	v_add_f64 v[42:43], v[56:57], -v[96:97]
	v_add_f64 v[44:45], v[50:51], -v[94:95]
	v_add_f64 v[46:47], v[92:93], v[54:55]
	v_add_f64 v[48:49], v[94:95], v[50:51]
	v_add_f64 v[50:51], v[54:55], -v[92:93]
	v_add_f64 v[52:53], v[52:53], -v[100:101]
	v_add_f64 v[54:55], v[96:97], v[56:57]
	v_add_f64 v[56:57], v[102:103], -v[98:99]
	v_add_f64 v[58:59], v[58:59], v[106:107]
	ds_write_b128 v4, v[0:3] offset:11648
	ds_write_b128 v4, v[36:39] offset:12480
	;; [unrolled: 1-line block ×7, first 2 shown]
	v_lshl_add_u64 v[0:1], v[178:179], 4, s[8:9]
	s_mov_b64 s[10:11], 0x16a0
	s_movk_i32 s12, 0x1000
	v_lshl_add_u64 v[2:3], v[0:1], 0, s[10:11]
	v_add_co_u32_e64 v0, s[2:3], s12, v0
	s_waitcnt lgkmcnt(0)
	s_nop 0
	v_addc_co_u32_e64 v1, s[2:3], 0, v1, s[2:3]
	; wave barrier
	global_load_dwordx4 v[28:31], v[0:1], off offset:1696
	global_load_dwordx4 v[32:35], v[2:3], off offset:16
	v_lshl_add_u64 v[0:1], v[190:191], 4, s[8:9]
	v_lshl_add_u64 v[2:3], v[0:1], 0, s[10:11]
	v_add_co_u32_e64 v0, s[2:3], s12, v0
	v_add_u32_e32 v37, v173, v209
	s_nop 0
	v_addc_co_u32_e64 v1, s[2:3], 0, v1, s[2:3]
	global_load_dwordx4 v[38:41], v[0:1], off offset:1696
	global_load_dwordx4 v[42:45], v[2:3], off offset:16
	v_lshl_add_u64 v[0:1], v[188:189], 4, s[8:9]
	v_lshl_add_u64 v[2:3], v[0:1], 0, s[10:11]
	v_add_co_u32_e64 v0, s[2:3], s12, v0
	v_add_u32_e32 v36, v175, v210
	s_nop 0
	v_addc_co_u32_e64 v1, s[2:3], 0, v1, s[2:3]
	global_load_dwordx4 v[46:49], v[0:1], off offset:1696
	global_load_dwordx4 v[50:53], v[2:3], off offset:16
	v_lshl_add_u64 v[0:1], v[186:187], 4, s[8:9]
	v_lshl_add_u64 v[2:3], v[0:1], 0, s[10:11]
	v_add_co_u32_e64 v0, s[2:3], s12, v0
	s_nop 1
	v_addc_co_u32_e64 v1, s[2:3], 0, v1, s[2:3]
	global_load_dwordx4 v[54:57], v[0:1], off offset:1696
	global_load_dwordx4 v[62:65], v[2:3], off offset:16
	v_lshl_add_u64 v[0:1], v[184:185], 4, s[8:9]
	v_lshl_add_u64 v[2:3], v[0:1], 0, s[10:11]
	v_add_co_u32_e64 v0, s[2:3], s12, v0
	;; [unrolled: 7-line block ×3, first 2 shown]
	s_nop 1
	v_addc_co_u32_e64 v1, s[2:3], 0, v1, s[2:3]
	global_load_dwordx4 v[74:77], v[0:1], off offset:1696
	global_load_dwordx4 v[78:81], v[2:3], off offset:16
	v_lshl_add_u64 v[0:1], v[180:181], 4, s[8:9]
	v_add_co_u32_e64 v2, s[2:3], s12, v0
	s_add_u32 s8, s8, 0x4420
	s_nop 0
	v_addc_co_u32_e64 v3, s[2:3], 0, v1, s[2:3]
	global_load_dwordx4 v[82:85], v[2:3], off offset:1696
	v_lshl_add_u64 v[0:1], v[0:1], 0, s[10:11]
	global_load_dwordx4 v[86:89], v[0:1], off offset:16
	ds_read_b128 v[24:27], v163
	ds_read_b128 v[90:93], v163 offset:6656
	ds_read_b128 v[20:23], v171
	ds_read_b128 v[16:19], v169
	ds_read_b128 v[94:97], v163 offset:12480
	ds_read_b128 v[98:101], v163 offset:13312
	ds_read_b128 v[102:105], v163 offset:7488
	ds_read_b128 v[106:109], v163 offset:8320
	ds_read_b128 v[12:15], v167
	ds_read_b128 v[8:11], v165
	ds_read_b128 v[110:113], v163 offset:14144
	ds_read_b128 v[114:117], v163 offset:14976
	ds_read_b128 v[4:7], v37
	ds_read_b128 v[118:121], v163 offset:9152
	ds_read_b128 v[122:125], v163 offset:9984
	ds_read_b128 v[126:129], v36
	ds_read_b128 v[0:3], v61
	ds_read_b128 v[130:133], v163 offset:11648
	ds_read_b128 v[134:137], v163 offset:10816
	;; [unrolled: 1-line block ×4, first 2 shown]
	s_mov_b32 s2, 0xe8584caa
	s_mov_b32 s3, 0x3febb67a
	;; [unrolled: 1-line block ×4, first 2 shown]
	s_waitcnt lgkmcnt(0)
	; wave barrier
	s_waitcnt lgkmcnt(0)
	s_addc_u32 s9, s9, 0
	s_waitcnt vmcnt(13)
	v_mul_f64 v[58:59], v[128:129], v[30:31]
	v_fma_f64 v[58:59], v[126:127], v[28:29], -v[58:59]
	v_mul_f64 v[126:127], v[126:127], v[30:31]
	v_fmac_f64_e32 v[126:127], v[128:129], v[28:29]
	s_waitcnt vmcnt(12)
	v_mul_f64 v[28:29], v[132:133], v[34:35]
	v_fma_f64 v[128:129], v[130:131], v[32:33], -v[28:29]
	v_mul_f64 v[34:35], v[130:131], v[34:35]
	v_fmac_f64_e32 v[34:35], v[132:133], v[32:33]
	s_waitcnt vmcnt(11)
	v_mul_f64 v[28:29], v[92:93], v[40:41]
	v_fma_f64 v[130:131], v[90:91], v[38:39], -v[28:29]
	v_mul_f64 v[90:91], v[90:91], v[40:41]
	s_waitcnt vmcnt(10)
	v_mul_f64 v[28:29], v[96:97], v[44:45]
	v_fmac_f64_e32 v[90:91], v[92:93], v[38:39]
	v_fma_f64 v[92:93], v[94:95], v[42:43], -v[28:29]
	v_mul_f64 v[44:45], v[94:95], v[44:45]
	v_fmac_f64_e32 v[44:45], v[96:97], v[42:43]
	s_waitcnt vmcnt(9)
	v_mul_f64 v[28:29], v[104:105], v[48:49]
	v_fma_f64 v[94:95], v[102:103], v[46:47], -v[28:29]
	s_waitcnt vmcnt(8)
	v_mul_f64 v[28:29], v[100:101], v[52:53]
	v_mul_f64 v[96:97], v[102:103], v[48:49]
	v_fma_f64 v[102:103], v[98:99], v[50:51], -v[28:29]
	v_mul_f64 v[52:53], v[98:99], v[52:53]
	v_fmac_f64_e32 v[96:97], v[104:105], v[46:47]
	v_fmac_f64_e32 v[52:53], v[100:101], v[50:51]
	s_waitcnt vmcnt(7)
	v_mul_f64 v[28:29], v[108:109], v[56:57]
	v_fma_f64 v[98:99], v[106:107], v[54:55], -v[28:29]
	s_waitcnt vmcnt(6)
	v_mul_f64 v[28:29], v[112:113], v[64:65]
	v_fma_f64 v[104:105], v[110:111], v[62:63], -v[28:29]
	v_mul_f64 v[100:101], v[106:107], v[56:57]
	v_mul_f64 v[64:65], v[110:111], v[64:65]
	v_fmac_f64_e32 v[64:65], v[112:113], v[62:63]
	v_fmac_f64_e32 v[100:101], v[108:109], v[54:55]
	s_waitcnt vmcnt(5)
	v_mul_f64 v[28:29], v[120:121], v[68:69]
	v_fma_f64 v[106:107], v[118:119], v[66:67], -v[28:29]
	s_waitcnt vmcnt(4)
	v_mul_f64 v[28:29], v[116:117], v[72:73]
	v_fma_f64 v[110:111], v[114:115], v[70:71], -v[28:29]
	v_mul_f64 v[72:73], v[114:115], v[72:73]
	v_fmac_f64_e32 v[72:73], v[116:117], v[70:71]
	v_mul_f64 v[108:109], v[118:119], v[68:69]
	v_add_f64 v[30:31], v[58:59], v[128:129]
	s_waitcnt vmcnt(3)
	v_mul_f64 v[28:29], v[124:125], v[76:77]
	v_fma_f64 v[112:113], v[122:123], v[74:75], -v[28:29]
	s_waitcnt vmcnt(2)
	v_mul_f64 v[28:29], v[140:141], v[80:81]
	v_fma_f64 v[116:117], v[138:139], v[78:79], -v[28:29]
	v_mul_f64 v[114:115], v[122:123], v[76:77]
	v_add_f64 v[38:39], v[58:59], -v[128:129]
	v_add_f64 v[40:41], v[130:131], v[92:93]
	v_add_f64 v[46:47], v[130:131], -v[92:93]
	s_waitcnt vmcnt(1)
	v_mul_f64 v[28:29], v[136:137], v[84:85]
	v_fma_f64 v[118:119], v[134:135], v[82:83], -v[28:29]
	s_waitcnt vmcnt(0)
	v_mul_f64 v[28:29], v[144:145], v[88:89]
	v_fma_f64 v[122:123], v[142:143], v[86:87], -v[28:29]
	v_add_f64 v[28:29], v[24:25], v[58:59]
	v_fmac_f64_e32 v[24:25], -0.5, v[30:31]
	v_add_f64 v[30:31], v[126:127], -v[34:35]
	v_fma_f64 v[32:33], s[2:3], v[30:31], v[24:25]
	v_fmac_f64_e32 v[24:25], s[10:11], v[30:31]
	v_add_f64 v[30:31], v[26:27], v[126:127]
	v_add_f64 v[30:31], v[30:31], v[34:35]
	;; [unrolled: 1-line block ×3, first 2 shown]
	v_fmac_f64_e32 v[26:27], -0.5, v[34:35]
	v_fma_f64 v[34:35], s[10:11], v[38:39], v[26:27]
	v_fmac_f64_e32 v[26:27], s[2:3], v[38:39]
	v_add_f64 v[38:39], v[20:21], v[130:131]
	v_fmac_f64_e32 v[20:21], -0.5, v[40:41]
	v_add_f64 v[40:41], v[90:91], -v[44:45]
	v_fma_f64 v[42:43], s[2:3], v[40:41], v[20:21]
	v_fmac_f64_e32 v[20:21], s[10:11], v[40:41]
	v_add_f64 v[40:41], v[22:23], v[90:91]
	v_add_f64 v[40:41], v[40:41], v[44:45]
	;; [unrolled: 1-line block ×3, first 2 shown]
	v_fmac_f64_e32 v[22:23], -0.5, v[44:45]
	v_add_f64 v[48:49], v[94:95], v[102:103]
	v_fma_f64 v[44:45], s[10:11], v[46:47], v[22:23]
	v_fmac_f64_e32 v[22:23], s[2:3], v[46:47]
	v_add_f64 v[46:47], v[16:17], v[94:95]
	v_fmac_f64_e32 v[16:17], -0.5, v[48:49]
	v_add_f64 v[48:49], v[96:97], -v[52:53]
	v_fma_f64 v[50:51], s[2:3], v[48:49], v[16:17]
	v_fmac_f64_e32 v[16:17], s[10:11], v[48:49]
	v_add_f64 v[48:49], v[18:19], v[96:97]
	v_add_f64 v[48:49], v[48:49], v[52:53]
	;; [unrolled: 1-line block ×3, first 2 shown]
	v_fmac_f64_e32 v[18:19], -0.5, v[52:53]
	v_add_f64 v[54:55], v[94:95], -v[102:103]
	v_add_f64 v[56:57], v[98:99], v[104:105]
	v_fma_f64 v[52:53], s[10:11], v[54:55], v[18:19]
	v_fmac_f64_e32 v[18:19], s[2:3], v[54:55]
	v_add_f64 v[54:55], v[12:13], v[98:99]
	v_fmac_f64_e32 v[12:13], -0.5, v[56:57]
	v_add_f64 v[56:57], v[100:101], -v[64:65]
	v_add_f64 v[58:59], v[100:101], v[64:65]
	v_fma_f64 v[62:63], s[2:3], v[56:57], v[12:13]
	v_fmac_f64_e32 v[12:13], s[10:11], v[56:57]
	v_add_f64 v[56:57], v[14:15], v[100:101]
	;; [unrolled: 6-line block ×3, first 2 shown]
	v_fmac_f64_e32 v[108:109], v[120:121], v[66:67]
	v_add_f64 v[66:67], v[58:59], v[110:111]
	v_add_f64 v[58:59], v[106:107], v[110:111]
	v_fmac_f64_e32 v[8:9], -0.5, v[58:59]
	v_add_f64 v[58:59], v[108:109], -v[72:73]
	v_fma_f64 v[70:71], s[2:3], v[58:59], v[8:9]
	v_fmac_f64_e32 v[8:9], s[10:11], v[58:59]
	v_add_f64 v[58:59], v[10:11], v[108:109]
	v_add_f64 v[68:69], v[58:59], v[72:73]
	;; [unrolled: 1-line block ×3, first 2 shown]
	v_fmac_f64_e32 v[10:11], -0.5, v[58:59]
	v_add_f64 v[58:59], v[106:107], -v[110:111]
	v_mul_f64 v[80:81], v[138:139], v[80:81]
	v_fma_f64 v[72:73], s[10:11], v[58:59], v[10:11]
	v_fmac_f64_e32 v[10:11], s[2:3], v[58:59]
	v_add_f64 v[58:59], v[4:5], v[112:113]
	v_fmac_f64_e32 v[114:115], v[124:125], v[74:75]
	v_fmac_f64_e32 v[80:81], v[140:141], v[78:79]
	v_add_f64 v[74:75], v[58:59], v[116:117]
	v_add_f64 v[58:59], v[112:113], v[116:117]
	v_fmac_f64_e32 v[4:5], -0.5, v[58:59]
	v_add_f64 v[58:59], v[114:115], -v[80:81]
	v_fma_f64 v[78:79], s[2:3], v[58:59], v[4:5]
	v_fmac_f64_e32 v[4:5], s[10:11], v[58:59]
	v_add_f64 v[58:59], v[6:7], v[114:115]
	v_add_f64 v[76:77], v[58:59], v[80:81]
	;; [unrolled: 1-line block ×3, first 2 shown]
	v_fmac_f64_e32 v[6:7], -0.5, v[58:59]
	v_add_f64 v[58:59], v[112:113], -v[116:117]
	v_mul_f64 v[120:121], v[134:135], v[84:85]
	v_mul_f64 v[88:89], v[142:143], v[88:89]
	v_fma_f64 v[80:81], s[10:11], v[58:59], v[6:7]
	v_fmac_f64_e32 v[6:7], s[2:3], v[58:59]
	v_add_f64 v[58:59], v[0:1], v[118:119]
	v_fmac_f64_e32 v[120:121], v[136:137], v[82:83]
	v_fmac_f64_e32 v[88:89], v[144:145], v[86:87]
	v_add_f64 v[82:83], v[58:59], v[122:123]
	v_add_f64 v[58:59], v[118:119], v[122:123]
	v_fmac_f64_e32 v[0:1], -0.5, v[58:59]
	v_add_f64 v[58:59], v[120:121], -v[88:89]
	v_fma_f64 v[86:87], s[2:3], v[58:59], v[0:1]
	v_fmac_f64_e32 v[0:1], s[10:11], v[58:59]
	v_add_f64 v[58:59], v[2:3], v[120:121]
	v_add_f64 v[84:85], v[58:59], v[88:89]
	;; [unrolled: 1-line block ×4, first 2 shown]
	v_fmac_f64_e32 v[2:3], -0.5, v[58:59]
	v_add_f64 v[58:59], v[118:119], -v[122:123]
	v_add_f64 v[38:39], v[38:39], v[92:93]
	v_add_f64 v[46:47], v[46:47], v[102:103]
	;; [unrolled: 1-line block ×3, first 2 shown]
	v_fma_f64 v[88:89], s[10:11], v[58:59], v[2:3]
	v_fmac_f64_e32 v[2:3], s[2:3], v[58:59]
	ds_write_b128 v163, v[28:31]
	ds_write_b128 v163, v[32:35] offset:5824
	ds_write_b128 v163, v[24:27] offset:11648
	ds_write_b128 v171, v[38:41]
	ds_write_b128 v171, v[42:45] offset:5824
	ds_write_b128 v171, v[20:23] offset:11648
	ds_write_b128 v169, v[46:49]
	ds_write_b128 v169, v[50:53] offset:5824
	ds_write_b128 v169, v[16:19] offset:11648
	ds_write_b128 v167, v[54:57]
	ds_write_b128 v167, v[62:65] offset:5824
	ds_write_b128 v167, v[12:15] offset:11648
	ds_write_b128 v165, v[66:69]
	ds_write_b128 v165, v[70:73] offset:5824
	ds_write_b128 v165, v[8:11] offset:11648
	ds_write_b128 v37, v[74:77]
	ds_write_b128 v37, v[78:81] offset:5824
	ds_write_b128 v37, v[4:7] offset:11648
	ds_write_b128 v61, v[82:85]
	ds_write_b128 v61, v[86:89] offset:5824
	ds_write_b128 v61, v[0:3] offset:11648
	s_waitcnt lgkmcnt(0)
	; wave barrier
	s_waitcnt lgkmcnt(0)
	ds_read_b128 v[4:7], v163
	v_sub_u32_e32 v16, 0, v155
	v_cmp_ne_u32_e64 s[2:3], 0, v154
                                        ; implicit-def: $vgpr2_vgpr3
                                        ; implicit-def: $vgpr8_vgpr9
	s_and_saveexec_b64 s[10:11], s[2:3]
	s_xor_b64 s[2:3], exec, s[10:11]
	s_cbranch_execz .LBB0_25
; %bb.24:
	v_mov_b32_e32 v155, v179
	v_lshl_add_u64 v[0:1], v[154:155], 4, s[8:9]
	global_load_dwordx4 v[10:13], v[0:1], off
	ds_read_b128 v[0:3], v16 offset:17472
	s_waitcnt lgkmcnt(0)
	v_add_f64 v[14:15], v[4:5], v[0:1]
	v_add_f64 v[0:1], v[4:5], -v[0:1]
	v_add_f64 v[8:9], v[6:7], v[2:3]
	v_add_f64 v[2:3], v[6:7], -v[2:3]
	v_mul_f64 v[6:7], v[0:1], 0.5
	v_mul_f64 v[0:1], v[2:3], 0.5
	;; [unrolled: 1-line block ×3, first 2 shown]
	s_waitcnt vmcnt(0)
	v_mul_f64 v[2:3], v[6:7], v[12:13]
	v_fma_f64 v[18:19], 0.5, v[14:15], v[2:3]
	v_fma_f64 v[8:9], v[4:5], v[12:13], v[0:1]
	v_fma_f64 v[12:13], v[4:5], v[12:13], -v[0:1]
	v_fma_f64 v[0:1], v[14:15], 0.5, -v[2:3]
	v_fmac_f64_e32 v[18:19], v[4:5], v[10:11]
	v_fma_f64 v[8:9], -v[10:11], v[6:7], v[8:9]
	v_fma_f64 v[0:1], -v[4:5], v[10:11], v[0:1]
	ds_write_b64 v163, v[18:19]
	v_fma_f64 v[2:3], -v[10:11], v[6:7], v[12:13]
                                        ; implicit-def: $vgpr4_vgpr5
.LBB0_25:
	s_or_saveexec_b64 s[2:3], s[2:3]
	v_sub_u32_e32 v17, 0, v159
	s_xor_b64 exec, exec, s[2:3]
	s_cbranch_execz .LBB0_27
; %bb.26:
	v_mov_b32_e32 v12, 0
	ds_read_b64 v[2:3], v12 offset:8744
	v_mov_b64_e32 v[8:9], 0
	s_waitcnt lgkmcnt(1)
	v_add_f64 v[10:11], v[4:5], v[6:7]
	v_add_f64 v[0:1], v[4:5], -v[6:7]
	ds_write_b64 v163, v[10:11]
	s_waitcnt lgkmcnt(1)
	v_xor_b32_e32 v3, 0x80000000, v3
	ds_write_b64 v12, v[2:3] offset:8744
	v_mov_b64_e32 v[2:3], v[8:9]
.LBB0_27:
	s_or_b64 exec, exec, s[2:3]
	v_mov_b32_e32 v159, 0
	s_waitcnt lgkmcnt(0)
	v_lshl_add_u64 v[4:5], v[158:159], 4, s[8:9]
	global_load_dwordx4 v[4:7], v[4:5], off
	v_mov_b32_e32 v177, v159
	v_lshl_add_u64 v[10:11], v[176:177], 4, s[8:9]
	global_load_dwordx4 v[18:21], v[10:11], off
	v_mov_b32_e32 v175, v159
	;; [unrolled: 3-line block ×3, first 2 shown]
	ds_write_b64 v163, v[8:9] offset:8
	ds_write_b128 v16, v[0:3] offset:17472
	v_lshl_add_u64 v[8:9], v[172:173], 4, s[8:9]
	ds_read_b128 v[0:3], v171
	ds_read_b128 v[22:25], v16 offset:16640
	global_load_dwordx4 v[8:11], v[8:9], off
	v_mov_b32_e32 v163, v159
	v_add_u32_e32 v17, v161, v17
	s_waitcnt lgkmcnt(0)
	v_add_f64 v[26:27], v[0:1], v[22:23]
	v_add_f64 v[0:1], v[0:1], -v[22:23]
	v_add_f64 v[28:29], v[2:3], v[24:25]
	v_add_f64 v[2:3], v[2:3], -v[24:25]
	v_mul_f64 v[24:25], v[0:1], 0.5
	v_mul_f64 v[22:23], v[28:29], 0.5
	v_mul_f64 v[0:1], v[2:3], 0.5
	s_waitcnt vmcnt(3)
	v_mul_f64 v[28:29], v[24:25], v[6:7]
	v_fma_f64 v[2:3], v[22:23], v[6:7], v[0:1]
	v_fma_f64 v[6:7], v[22:23], v[6:7], -v[0:1]
	v_fma_f64 v[0:1], 0.5, v[26:27], v[28:29]
	v_fma_f64 v[2:3], -v[4:5], v[24:25], v[2:3]
	v_fma_f64 v[26:27], v[26:27], 0.5, -v[28:29]
	v_fmac_f64_e32 v[0:1], v[22:23], v[4:5]
	v_fma_f64 v[6:7], -v[4:5], v[24:25], v[6:7]
	v_fma_f64 v[4:5], -v[22:23], v[4:5], v[26:27]
	ds_write_b128 v171, v[0:3]
	ds_write_b128 v16, v[4:7] offset:16640
	v_mov_b32_e32 v171, v159
	v_lshl_add_u64 v[4:5], v[170:171], 4, s[8:9]
	ds_read_b128 v[0:3], v169
	ds_read_b128 v[22:25], v16 offset:15808
	global_load_dwordx4 v[4:7], v[4:5], off
	s_waitcnt lgkmcnt(0)
	v_add_f64 v[26:27], v[0:1], v[22:23]
	v_add_f64 v[0:1], v[0:1], -v[22:23]
	v_add_f64 v[28:29], v[2:3], v[24:25]
	v_add_f64 v[2:3], v[2:3], -v[24:25]
	v_mul_f64 v[24:25], v[0:1], 0.5
	v_mul_f64 v[22:23], v[28:29], 0.5
	v_mul_f64 v[0:1], v[2:3], 0.5
	s_waitcnt vmcnt(3)
	v_mul_f64 v[28:29], v[24:25], v[20:21]
	v_fma_f64 v[2:3], v[22:23], v[20:21], v[0:1]
	v_fma_f64 v[20:21], v[22:23], v[20:21], -v[0:1]
	v_fma_f64 v[0:1], 0.5, v[26:27], v[28:29]
	v_fma_f64 v[2:3], -v[18:19], v[24:25], v[2:3]
	v_fma_f64 v[26:27], v[26:27], 0.5, -v[28:29]
	v_fmac_f64_e32 v[0:1], v[22:23], v[18:19]
	v_fma_f64 v[20:21], -v[18:19], v[24:25], v[20:21]
	v_fma_f64 v[18:19], -v[22:23], v[18:19], v[26:27]
	ds_write_b128 v169, v[0:3]
	ds_write_b128 v16, v[18:21] offset:15808
	v_mov_b32_e32 v169, v159
	v_lshl_add_u64 v[0:1], v[168:169], 4, s[8:9]
	ds_read_b128 v[18:21], v167
	ds_read_b128 v[22:25], v16 offset:14976
	global_load_dwordx4 v[0:3], v[0:1], off
	;; [unrolled: 25-line block ×4, first 2 shown]
	s_waitcnt lgkmcnt(0)
	v_add_f64 v[26:27], v[8:9], v[12:13]
	v_add_f64 v[8:9], v[8:9], -v[12:13]
	v_add_f64 v[28:29], v[10:11], v[14:15]
	v_add_f64 v[10:11], v[10:11], -v[14:15]
	v_mul_f64 v[12:13], v[8:9], 0.5
	v_mul_f64 v[14:15], v[28:29], 0.5
	;; [unrolled: 1-line block ×3, first 2 shown]
	s_waitcnt vmcnt(3)
	v_mul_f64 v[10:11], v[12:13], v[6:7]
	v_fma_f64 v[28:29], v[14:15], v[6:7], v[8:9]
	v_fma_f64 v[30:31], v[14:15], v[6:7], -v[8:9]
	v_fma_f64 v[6:7], 0.5, v[26:27], v[10:11]
	v_fma_f64 v[8:9], -v[4:5], v[12:13], v[28:29]
	v_fma_f64 v[10:11], v[26:27], 0.5, -v[10:11]
	v_fma_f64 v[12:13], -v[4:5], v[12:13], v[30:31]
	v_fmac_f64_e32 v[6:7], v[14:15], v[4:5]
	v_fma_f64 v[10:11], -v[14:15], v[4:5], v[10:11]
	ds_write_b128 v37, v[6:9]
	ds_write_b128 v16, v[10:13] offset:13312
	v_lshl_add_u64 v[12:13], v[162:163], 4, s[8:9]
	ds_read_b128 v[4:7], v61
	ds_read_b128 v[8:11], v16 offset:12480
	global_load_dwordx4 v[12:15], v[12:13], off
	s_waitcnt lgkmcnt(0)
	v_add_f64 v[26:27], v[4:5], v[8:9]
	v_add_f64 v[4:5], v[4:5], -v[8:9]
	v_add_f64 v[28:29], v[6:7], v[10:11]
	v_add_f64 v[6:7], v[6:7], -v[10:11]
	v_mul_f64 v[10:11], v[4:5], 0.5
	v_mul_f64 v[8:9], v[28:29], 0.5
	v_mul_f64 v[28:29], v[6:7], 0.5
	s_waitcnt vmcnt(3)
	v_mul_f64 v[30:31], v[10:11], v[2:3]
	v_fma_f64 v[4:5], 0.5, v[26:27], v[30:31]
	v_fma_f64 v[6:7], v[8:9], v[2:3], v[28:29]
	v_fmac_f64_e32 v[4:5], v[8:9], v[0:1]
	v_fma_f64 v[6:7], -v[0:1], v[10:11], v[6:7]
	ds_write_b128 v61, v[4:7]
	v_fma_f64 v[4:5], v[26:27], 0.5, -v[30:31]
	v_fma_f64 v[2:3], v[8:9], v[2:3], -v[28:29]
	v_fma_f64 v[4:5], -v[8:9], v[0:1], v[4:5]
	v_fma_f64 v[6:7], -v[0:1], v[10:11], v[2:3]
	ds_write_b128 v16, v[4:7] offset:12480
	ds_read_b128 v[0:3], v36
	ds_read_b128 v[4:7], v16 offset:11648
	s_waitcnt lgkmcnt(0)
	v_add_f64 v[8:9], v[0:1], v[4:5]
	v_add_f64 v[0:1], v[0:1], -v[4:5]
	v_add_f64 v[10:11], v[2:3], v[6:7]
	v_add_f64 v[2:3], v[2:3], -v[6:7]
	v_mul_f64 v[4:5], v[0:1], 0.5
	v_mul_f64 v[10:11], v[10:11], 0.5
	v_mul_f64 v[6:7], v[2:3], 0.5
	s_waitcnt vmcnt(2)
	v_mul_f64 v[26:27], v[4:5], v[24:25]
	v_fma_f64 v[0:1], 0.5, v[8:9], v[26:27]
	v_fma_f64 v[2:3], v[10:11], v[24:25], v[6:7]
	v_fmac_f64_e32 v[0:1], v[10:11], v[22:23]
	v_fma_f64 v[2:3], -v[22:23], v[4:5], v[2:3]
	ds_write_b128 v36, v[0:3]
	v_fma_f64 v[0:1], v[8:9], 0.5, -v[26:27]
	v_fma_f64 v[2:3], v[10:11], v[24:25], -v[6:7]
	v_fma_f64 v[0:1], -v[10:11], v[22:23], v[0:1]
	v_fma_f64 v[2:3], -v[22:23], v[4:5], v[2:3]
	ds_write_b128 v16, v[0:3] offset:11648
	ds_read_b128 v[0:3], v17
	ds_read_b128 v[4:7], v16 offset:10816
	;; [unrolled: 22-line block ×3, first 2 shown]
	s_waitcnt lgkmcnt(0)
	v_add_f64 v[8:9], v[0:1], v[4:5]
	v_add_f64 v[0:1], v[0:1], -v[4:5]
	v_add_f64 v[10:11], v[2:3], v[6:7]
	v_add_f64 v[2:3], v[2:3], -v[6:7]
	v_mul_f64 v[4:5], v[0:1], 0.5
	v_mul_f64 v[10:11], v[10:11], 0.5
	;; [unrolled: 1-line block ×3, first 2 shown]
	s_waitcnt vmcnt(0)
	v_mul_f64 v[18:19], v[4:5], v[14:15]
	v_fma_f64 v[0:1], 0.5, v[8:9], v[18:19]
	v_fma_f64 v[2:3], v[10:11], v[14:15], v[6:7]
	v_fmac_f64_e32 v[0:1], v[10:11], v[12:13]
	v_fma_f64 v[2:3], -v[12:13], v[4:5], v[2:3]
	ds_write_b128 v60, v[0:3]
	v_fma_f64 v[0:1], v[8:9], 0.5, -v[18:19]
	v_fma_f64 v[2:3], v[10:11], v[14:15], -v[6:7]
	v_fma_f64 v[0:1], -v[10:11], v[12:13], v[0:1]
	v_fma_f64 v[2:3], -v[12:13], v[4:5], v[2:3]
	ds_write_b128 v16, v[0:3] offset:9984
	s_and_saveexec_b64 s[2:3], vcc
	s_cbranch_execz .LBB0_29
; %bb.28:
	v_mov_b32_e32 v161, v159
	v_lshl_add_u64 v[0:1], v[160:161], 4, s[8:9]
	global_load_dwordx4 v[0:3], v[0:1], off
	ds_read_b128 v[4:7], v208
	ds_read_b128 v[8:11], v16 offset:9152
	s_waitcnt lgkmcnt(0)
	v_add_f64 v[12:13], v[4:5], v[8:9]
	v_add_f64 v[4:5], v[4:5], -v[8:9]
	v_add_f64 v[14:15], v[6:7], v[10:11]
	v_add_f64 v[6:7], v[6:7], -v[10:11]
	v_mul_f64 v[8:9], v[4:5], 0.5
	v_mul_f64 v[10:11], v[14:15], 0.5
	;; [unrolled: 1-line block ×3, first 2 shown]
	s_waitcnt vmcnt(0)
	v_mul_f64 v[6:7], v[8:9], v[2:3]
	v_fma_f64 v[14:15], v[10:11], v[2:3], v[4:5]
	v_fma_f64 v[18:19], v[10:11], v[2:3], -v[4:5]
	v_fma_f64 v[2:3], 0.5, v[12:13], v[6:7]
	v_fma_f64 v[4:5], -v[0:1], v[8:9], v[14:15]
	v_fma_f64 v[6:7], v[12:13], 0.5, -v[6:7]
	v_fmac_f64_e32 v[2:3], v[10:11], v[0:1]
	v_fma_f64 v[8:9], -v[0:1], v[8:9], v[18:19]
	v_fma_f64 v[6:7], -v[10:11], v[0:1], v[6:7]
	ds_write_b128 v208, v[2:5]
	ds_write_b128 v16, v[6:9] offset:9152
.LBB0_29:
	s_or_b64 exec, exec, s[2:3]
	s_waitcnt lgkmcnt(0)
	; wave barrier
	s_waitcnt lgkmcnt(0)
	s_and_saveexec_b64 s[2:3], s[0:1]
	s_cbranch_execz .LBB0_32
; %bb.30:
	v_mul_lo_u32 v2, s5, v156
	v_mul_lo_u32 v3, s4, v157
	v_mad_u64_u32 v[0:1], s[0:1], s4, v156, 0
	v_lshl_add_u32 v12, v154, 4, 0
	v_add3_u32 v1, v1, v3, v2
	ds_read_b128 v[2:5], v12
	ds_read_b128 v[6:9], v12 offset:832
	v_lshl_add_u64 v[0:1], v[0:1], 4, s[6:7]
	v_mov_b32_e32 v155, 0
	v_lshl_add_u64 v[0:1], v[152:153], 4, v[0:1]
	v_lshl_add_u64 v[10:11], v[154:155], 4, v[0:1]
	s_waitcnt lgkmcnt(1)
	global_store_dwordx4 v[10:11], v[2:5], off
	v_cmp_eq_u32_e32 vcc, 51, v154
	s_nop 0
	v_add_u32_e32 v2, 52, v154
	v_mov_b32_e32 v3, v155
	v_lshl_add_u64 v[2:3], v[2:3], 4, v[0:1]
	s_waitcnt lgkmcnt(0)
	global_store_dwordx4 v[2:3], v[6:9], off
	ds_read_b128 v[2:5], v12 offset:1664
	s_nop 0
	v_add_u32_e32 v6, 0x68, v154
	v_mov_b32_e32 v7, v155
	v_lshl_add_u64 v[10:11], v[6:7], 4, v[0:1]
	ds_read_b128 v[6:9], v12 offset:2496
	s_waitcnt lgkmcnt(1)
	global_store_dwordx4 v[10:11], v[2:5], off
	s_nop 1
	v_add_u32_e32 v2, 0x9c, v154
	v_mov_b32_e32 v3, v155
	v_lshl_add_u64 v[2:3], v[2:3], 4, v[0:1]
	s_waitcnt lgkmcnt(0)
	global_store_dwordx4 v[2:3], v[6:9], off
	ds_read_b128 v[2:5], v12 offset:3328
	s_nop 0
	v_add_u32_e32 v6, 0xd0, v154
	v_mov_b32_e32 v7, v155
	v_lshl_add_u64 v[10:11], v[6:7], 4, v[0:1]
	ds_read_b128 v[6:9], v12 offset:4160
	s_waitcnt lgkmcnt(1)
	global_store_dwordx4 v[10:11], v[2:5], off
	;; [unrolled: 14-line block ×9, first 2 shown]
	s_nop 1
	v_add_u32_e32 v2, 0x3dc, v154
	v_mov_b32_e32 v3, v155
	v_lshl_add_u64 v[10:11], v[2:3], 4, v[0:1]
	ds_read_b128 v[2:5], v12 offset:16640
	s_waitcnt lgkmcnt(1)
	global_store_dwordx4 v[10:11], v[6:9], off
	s_nop 1
	v_add_u32_e32 v6, 0x410, v154
	v_mov_b32_e32 v7, v155
	v_lshl_add_u64 v[6:7], v[6:7], 4, v[0:1]
	s_waitcnt lgkmcnt(0)
	global_store_dwordx4 v[6:7], v[2:5], off
	s_and_b64 exec, exec, vcc
	s_cbranch_execz .LBB0_32
; %bb.31:
	ds_read_b128 v[2:5], v155 offset:17472
	v_add_co_u32_e32 v0, vcc, 0x4000, v0
	s_nop 1
	v_addc_co_u32_e32 v1, vcc, 0, v1, vcc
	s_waitcnt lgkmcnt(0)
	global_store_dwordx4 v[0:1], v[2:5], off offset:1088
.LBB0_32:
	s_endpgm
	.section	.rodata,"a",@progbits
	.p2align	6, 0x0
	.amdhsa_kernel fft_rtc_fwd_len1092_factors_2_2_13_7_3_wgs_52_tpt_52_halfLds_dp_op_CI_CI_unitstride_sbrr_R2C_dirReg
		.amdhsa_group_segment_fixed_size 0
		.amdhsa_private_segment_fixed_size 0
		.amdhsa_kernarg_size 104
		.amdhsa_user_sgpr_count 2
		.amdhsa_user_sgpr_dispatch_ptr 0
		.amdhsa_user_sgpr_queue_ptr 0
		.amdhsa_user_sgpr_kernarg_segment_ptr 1
		.amdhsa_user_sgpr_dispatch_id 0
		.amdhsa_user_sgpr_kernarg_preload_length 0
		.amdhsa_user_sgpr_kernarg_preload_offset 0
		.amdhsa_user_sgpr_private_segment_size 0
		.amdhsa_uses_dynamic_stack 0
		.amdhsa_enable_private_segment 0
		.amdhsa_system_sgpr_workgroup_id_x 1
		.amdhsa_system_sgpr_workgroup_id_y 0
		.amdhsa_system_sgpr_workgroup_id_z 0
		.amdhsa_system_sgpr_workgroup_info 0
		.amdhsa_system_vgpr_workitem_id 0
		.amdhsa_next_free_vgpr 244
		.amdhsa_next_free_sgpr 50
		.amdhsa_accum_offset 244
		.amdhsa_reserve_vcc 1
		.amdhsa_float_round_mode_32 0
		.amdhsa_float_round_mode_16_64 0
		.amdhsa_float_denorm_mode_32 3
		.amdhsa_float_denorm_mode_16_64 3
		.amdhsa_dx10_clamp 1
		.amdhsa_ieee_mode 1
		.amdhsa_fp16_overflow 0
		.amdhsa_tg_split 0
		.amdhsa_exception_fp_ieee_invalid_op 0
		.amdhsa_exception_fp_denorm_src 0
		.amdhsa_exception_fp_ieee_div_zero 0
		.amdhsa_exception_fp_ieee_overflow 0
		.amdhsa_exception_fp_ieee_underflow 0
		.amdhsa_exception_fp_ieee_inexact 0
		.amdhsa_exception_int_div_zero 0
	.end_amdhsa_kernel
	.text
.Lfunc_end0:
	.size	fft_rtc_fwd_len1092_factors_2_2_13_7_3_wgs_52_tpt_52_halfLds_dp_op_CI_CI_unitstride_sbrr_R2C_dirReg, .Lfunc_end0-fft_rtc_fwd_len1092_factors_2_2_13_7_3_wgs_52_tpt_52_halfLds_dp_op_CI_CI_unitstride_sbrr_R2C_dirReg
                                        ; -- End function
	.section	.AMDGPU.csdata,"",@progbits
; Kernel info:
; codeLenInByte = 20192
; NumSgprs: 56
; NumVgprs: 244
; NumAgprs: 0
; TotalNumVgprs: 244
; ScratchSize: 0
; MemoryBound: 0
; FloatMode: 240
; IeeeMode: 1
; LDSByteSize: 0 bytes/workgroup (compile time only)
; SGPRBlocks: 6
; VGPRBlocks: 30
; NumSGPRsForWavesPerEU: 56
; NumVGPRsForWavesPerEU: 244
; AccumOffset: 244
; Occupancy: 2
; WaveLimiterHint : 1
; COMPUTE_PGM_RSRC2:SCRATCH_EN: 0
; COMPUTE_PGM_RSRC2:USER_SGPR: 2
; COMPUTE_PGM_RSRC2:TRAP_HANDLER: 0
; COMPUTE_PGM_RSRC2:TGID_X_EN: 1
; COMPUTE_PGM_RSRC2:TGID_Y_EN: 0
; COMPUTE_PGM_RSRC2:TGID_Z_EN: 0
; COMPUTE_PGM_RSRC2:TIDIG_COMP_CNT: 0
; COMPUTE_PGM_RSRC3_GFX90A:ACCUM_OFFSET: 60
; COMPUTE_PGM_RSRC3_GFX90A:TG_SPLIT: 0
	.text
	.p2alignl 6, 3212836864
	.fill 256, 4, 3212836864
	.type	__hip_cuid_27d9c5384dcc0b86,@object ; @__hip_cuid_27d9c5384dcc0b86
	.section	.bss,"aw",@nobits
	.globl	__hip_cuid_27d9c5384dcc0b86
__hip_cuid_27d9c5384dcc0b86:
	.byte	0                               ; 0x0
	.size	__hip_cuid_27d9c5384dcc0b86, 1

	.ident	"AMD clang version 19.0.0git (https://github.com/RadeonOpenCompute/llvm-project roc-6.4.0 25133 c7fe45cf4b819c5991fe208aaa96edf142730f1d)"
	.section	".note.GNU-stack","",@progbits
	.addrsig
	.addrsig_sym __hip_cuid_27d9c5384dcc0b86
	.amdgpu_metadata
---
amdhsa.kernels:
  - .agpr_count:     0
    .args:
      - .actual_access:  read_only
        .address_space:  global
        .offset:         0
        .size:           8
        .value_kind:     global_buffer
      - .offset:         8
        .size:           8
        .value_kind:     by_value
      - .actual_access:  read_only
        .address_space:  global
        .offset:         16
        .size:           8
        .value_kind:     global_buffer
      - .actual_access:  read_only
        .address_space:  global
        .offset:         24
        .size:           8
        .value_kind:     global_buffer
      - .actual_access:  read_only
        .address_space:  global
        .offset:         32
        .size:           8
        .value_kind:     global_buffer
      - .offset:         40
        .size:           8
        .value_kind:     by_value
      - .actual_access:  read_only
        .address_space:  global
        .offset:         48
        .size:           8
        .value_kind:     global_buffer
      - .actual_access:  read_only
        .address_space:  global
        .offset:         56
        .size:           8
        .value_kind:     global_buffer
      - .offset:         64
        .size:           4
        .value_kind:     by_value
      - .actual_access:  read_only
        .address_space:  global
        .offset:         72
        .size:           8
        .value_kind:     global_buffer
      - .actual_access:  read_only
        .address_space:  global
        .offset:         80
        .size:           8
        .value_kind:     global_buffer
      - .actual_access:  read_only
        .address_space:  global
        .offset:         88
        .size:           8
        .value_kind:     global_buffer
      - .actual_access:  write_only
        .address_space:  global
        .offset:         96
        .size:           8
        .value_kind:     global_buffer
    .group_segment_fixed_size: 0
    .kernarg_segment_align: 8
    .kernarg_segment_size: 104
    .language:       OpenCL C
    .language_version:
      - 2
      - 0
    .max_flat_workgroup_size: 52
    .name:           fft_rtc_fwd_len1092_factors_2_2_13_7_3_wgs_52_tpt_52_halfLds_dp_op_CI_CI_unitstride_sbrr_R2C_dirReg
    .private_segment_fixed_size: 0
    .sgpr_count:     56
    .sgpr_spill_count: 0
    .symbol:         fft_rtc_fwd_len1092_factors_2_2_13_7_3_wgs_52_tpt_52_halfLds_dp_op_CI_CI_unitstride_sbrr_R2C_dirReg.kd
    .uniform_work_group_size: 1
    .uses_dynamic_stack: false
    .vgpr_count:     244
    .vgpr_spill_count: 0
    .wavefront_size: 64
amdhsa.target:   amdgcn-amd-amdhsa--gfx950
amdhsa.version:
  - 1
  - 2
...

	.end_amdgpu_metadata
